;; amdgpu-corpus repo=ROCm/rocFFT kind=compiled arch=gfx1201 opt=O3
	.text
	.amdgcn_target "amdgcn-amd-amdhsa--gfx1201"
	.amdhsa_code_object_version 6
	.protected	fft_rtc_back_len680_factors_17_4_10_wgs_204_tpt_68_halfLds_dp_ip_CI_unitstride_sbrr_C2R_dirReg ; -- Begin function fft_rtc_back_len680_factors_17_4_10_wgs_204_tpt_68_halfLds_dp_ip_CI_unitstride_sbrr_C2R_dirReg
	.globl	fft_rtc_back_len680_factors_17_4_10_wgs_204_tpt_68_halfLds_dp_ip_CI_unitstride_sbrr_C2R_dirReg
	.p2align	8
	.type	fft_rtc_back_len680_factors_17_4_10_wgs_204_tpt_68_halfLds_dp_ip_CI_unitstride_sbrr_C2R_dirReg,@function
fft_rtc_back_len680_factors_17_4_10_wgs_204_tpt_68_halfLds_dp_ip_CI_unitstride_sbrr_C2R_dirReg: ; @fft_rtc_back_len680_factors_17_4_10_wgs_204_tpt_68_halfLds_dp_ip_CI_unitstride_sbrr_C2R_dirReg
; %bb.0:
	s_load_b128 s[4:7], s[0:1], 0x0
	v_mul_u32_u24_e32 v1, 0x3c4, v0
	s_clause 0x1
	s_load_b64 s[8:9], s[0:1], 0x50
	s_load_b64 s[10:11], s[0:1], 0x18
	v_mov_b32_e32 v5, 0
	v_lshrrev_b32_e32 v1, 16, v1
	s_delay_alu instid0(VALU_DEP_1) | instskip(SKIP_3) | instid1(VALU_DEP_1)
	v_mad_co_u64_u32 v[1:2], null, ttmp9, 3, v[1:2]
	v_mov_b32_e32 v3, 0
	v_mov_b32_e32 v4, 0
	;; [unrolled: 1-line block ×4, first 2 shown]
	s_wait_kmcnt 0x0
	v_cmp_lt_u64_e64 s2, s[6:7], 2
	v_mov_b32_e32 v9, v1
	s_delay_alu instid0(VALU_DEP_2)
	s_and_b32 vcc_lo, exec_lo, s2
	s_cbranch_vccnz .LBB0_8
; %bb.1:
	s_load_b64 s[2:3], s[0:1], 0x10
	v_dual_mov_b32 v3, 0 :: v_dual_mov_b32 v8, v2
	v_dual_mov_b32 v4, 0 :: v_dual_mov_b32 v7, v1
	s_add_nc_u64 s[12:13], s[10:11], 8
	s_mov_b64 s[14:15], 1
	s_wait_kmcnt 0x0
	s_add_nc_u64 s[16:17], s[2:3], 8
	s_mov_b32 s3, 0
.LBB0_2:                                ; =>This Inner Loop Header: Depth=1
	s_load_b64 s[18:19], s[16:17], 0x0
                                        ; implicit-def: $vgpr9_vgpr10
	s_mov_b32 s2, exec_lo
	s_wait_kmcnt 0x0
	v_or_b32_e32 v6, s19, v8
	s_delay_alu instid0(VALU_DEP_1)
	v_cmpx_ne_u64_e32 0, v[5:6]
	s_wait_alu 0xfffe
	s_xor_b32 s20, exec_lo, s2
	s_cbranch_execz .LBB0_4
; %bb.3:                                ;   in Loop: Header=BB0_2 Depth=1
	s_cvt_f32_u32 s2, s18
	s_cvt_f32_u32 s21, s19
	s_sub_nc_u64 s[24:25], 0, s[18:19]
	s_wait_alu 0xfffe
	s_delay_alu instid0(SALU_CYCLE_1) | instskip(SKIP_1) | instid1(SALU_CYCLE_2)
	s_fmamk_f32 s2, s21, 0x4f800000, s2
	s_wait_alu 0xfffe
	v_s_rcp_f32 s2, s2
	s_delay_alu instid0(TRANS32_DEP_1) | instskip(SKIP_1) | instid1(SALU_CYCLE_2)
	s_mul_f32 s2, s2, 0x5f7ffffc
	s_wait_alu 0xfffe
	s_mul_f32 s21, s2, 0x2f800000
	s_wait_alu 0xfffe
	s_delay_alu instid0(SALU_CYCLE_2) | instskip(SKIP_1) | instid1(SALU_CYCLE_2)
	s_trunc_f32 s21, s21
	s_wait_alu 0xfffe
	s_fmamk_f32 s2, s21, 0xcf800000, s2
	s_cvt_u32_f32 s23, s21
	s_wait_alu 0xfffe
	s_delay_alu instid0(SALU_CYCLE_1) | instskip(SKIP_1) | instid1(SALU_CYCLE_2)
	s_cvt_u32_f32 s22, s2
	s_wait_alu 0xfffe
	s_mul_u64 s[26:27], s[24:25], s[22:23]
	s_wait_alu 0xfffe
	s_mul_hi_u32 s29, s22, s27
	s_mul_i32 s28, s22, s27
	s_mul_hi_u32 s2, s22, s26
	s_mul_i32 s30, s23, s26
	s_wait_alu 0xfffe
	s_add_nc_u64 s[28:29], s[2:3], s[28:29]
	s_mul_hi_u32 s21, s23, s26
	s_mul_hi_u32 s31, s23, s27
	s_add_co_u32 s2, s28, s30
	s_wait_alu 0xfffe
	s_add_co_ci_u32 s2, s29, s21
	s_mul_i32 s26, s23, s27
	s_add_co_ci_u32 s27, s31, 0
	s_wait_alu 0xfffe
	s_add_nc_u64 s[26:27], s[2:3], s[26:27]
	s_wait_alu 0xfffe
	v_add_co_u32 v2, s2, s22, s26
	s_delay_alu instid0(VALU_DEP_1) | instskip(SKIP_1) | instid1(VALU_DEP_1)
	s_cmp_lg_u32 s2, 0
	s_add_co_ci_u32 s23, s23, s27
	v_readfirstlane_b32 s22, v2
	s_wait_alu 0xfffe
	s_delay_alu instid0(VALU_DEP_1)
	s_mul_u64 s[24:25], s[24:25], s[22:23]
	s_wait_alu 0xfffe
	s_mul_hi_u32 s27, s22, s25
	s_mul_i32 s26, s22, s25
	s_mul_hi_u32 s2, s22, s24
	s_mul_i32 s28, s23, s24
	s_wait_alu 0xfffe
	s_add_nc_u64 s[26:27], s[2:3], s[26:27]
	s_mul_hi_u32 s21, s23, s24
	s_mul_hi_u32 s22, s23, s25
	s_wait_alu 0xfffe
	s_add_co_u32 s2, s26, s28
	s_add_co_ci_u32 s2, s27, s21
	s_mul_i32 s24, s23, s25
	s_add_co_ci_u32 s25, s22, 0
	s_wait_alu 0xfffe
	s_add_nc_u64 s[24:25], s[2:3], s[24:25]
	s_wait_alu 0xfffe
	v_add_co_u32 v2, s2, v2, s24
	s_delay_alu instid0(VALU_DEP_1) | instskip(SKIP_1) | instid1(VALU_DEP_1)
	s_cmp_lg_u32 s2, 0
	s_add_co_ci_u32 s2, s23, s25
	v_mul_hi_u32 v6, v7, v2
	s_wait_alu 0xfffe
	v_mad_co_u64_u32 v[9:10], null, v7, s2, 0
	v_mad_co_u64_u32 v[11:12], null, v8, v2, 0
	;; [unrolled: 1-line block ×3, first 2 shown]
	s_delay_alu instid0(VALU_DEP_3) | instskip(SKIP_1) | instid1(VALU_DEP_4)
	v_add_co_u32 v2, vcc_lo, v6, v9
	s_wait_alu 0xfffd
	v_add_co_ci_u32_e32 v6, vcc_lo, 0, v10, vcc_lo
	s_delay_alu instid0(VALU_DEP_2) | instskip(SKIP_1) | instid1(VALU_DEP_2)
	v_add_co_u32 v2, vcc_lo, v2, v11
	s_wait_alu 0xfffd
	v_add_co_ci_u32_e32 v2, vcc_lo, v6, v12, vcc_lo
	s_wait_alu 0xfffd
	v_add_co_ci_u32_e32 v6, vcc_lo, 0, v14, vcc_lo
	s_delay_alu instid0(VALU_DEP_2) | instskip(SKIP_1) | instid1(VALU_DEP_2)
	v_add_co_u32 v2, vcc_lo, v2, v13
	s_wait_alu 0xfffd
	v_add_co_ci_u32_e32 v6, vcc_lo, 0, v6, vcc_lo
	s_delay_alu instid0(VALU_DEP_2) | instskip(SKIP_1) | instid1(VALU_DEP_3)
	v_mul_lo_u32 v11, s19, v2
	v_mad_co_u64_u32 v[9:10], null, s18, v2, 0
	v_mul_lo_u32 v12, s18, v6
	s_delay_alu instid0(VALU_DEP_2) | instskip(NEXT) | instid1(VALU_DEP_2)
	v_sub_co_u32 v9, vcc_lo, v7, v9
	v_add3_u32 v10, v10, v12, v11
	s_delay_alu instid0(VALU_DEP_1) | instskip(SKIP_1) | instid1(VALU_DEP_1)
	v_sub_nc_u32_e32 v11, v8, v10
	s_wait_alu 0xfffd
	v_subrev_co_ci_u32_e64 v11, s2, s19, v11, vcc_lo
	v_add_co_u32 v12, s2, v2, 2
	s_wait_alu 0xf1ff
	v_add_co_ci_u32_e64 v13, s2, 0, v6, s2
	v_sub_co_u32 v14, s2, v9, s18
	v_sub_co_ci_u32_e32 v10, vcc_lo, v8, v10, vcc_lo
	s_wait_alu 0xf1ff
	v_subrev_co_ci_u32_e64 v11, s2, 0, v11, s2
	s_delay_alu instid0(VALU_DEP_3) | instskip(NEXT) | instid1(VALU_DEP_3)
	v_cmp_le_u32_e32 vcc_lo, s18, v14
	v_cmp_eq_u32_e64 s2, s19, v10
	s_wait_alu 0xfffd
	v_cndmask_b32_e64 v14, 0, -1, vcc_lo
	v_cmp_le_u32_e32 vcc_lo, s19, v11
	s_wait_alu 0xfffd
	v_cndmask_b32_e64 v15, 0, -1, vcc_lo
	v_cmp_le_u32_e32 vcc_lo, s18, v9
	;; [unrolled: 3-line block ×3, first 2 shown]
	s_wait_alu 0xfffd
	v_cndmask_b32_e64 v16, 0, -1, vcc_lo
	v_cmp_eq_u32_e32 vcc_lo, s19, v11
	s_wait_alu 0xf1ff
	s_delay_alu instid0(VALU_DEP_2)
	v_cndmask_b32_e64 v9, v16, v9, s2
	s_wait_alu 0xfffd
	v_cndmask_b32_e32 v11, v15, v14, vcc_lo
	v_add_co_u32 v14, vcc_lo, v2, 1
	s_wait_alu 0xfffd
	v_add_co_ci_u32_e32 v15, vcc_lo, 0, v6, vcc_lo
	s_delay_alu instid0(VALU_DEP_3) | instskip(SKIP_1) | instid1(VALU_DEP_2)
	v_cmp_ne_u32_e32 vcc_lo, 0, v11
	s_wait_alu 0xfffd
	v_dual_cndmask_b32 v10, v15, v13 :: v_dual_cndmask_b32 v11, v14, v12
	v_cmp_ne_u32_e32 vcc_lo, 0, v9
	s_wait_alu 0xfffd
	s_delay_alu instid0(VALU_DEP_2) | instskip(NEXT) | instid1(VALU_DEP_3)
	v_cndmask_b32_e32 v10, v6, v10, vcc_lo
	v_cndmask_b32_e32 v9, v2, v11, vcc_lo
.LBB0_4:                                ;   in Loop: Header=BB0_2 Depth=1
	s_wait_alu 0xfffe
	s_and_not1_saveexec_b32 s2, s20
	s_cbranch_execz .LBB0_6
; %bb.5:                                ;   in Loop: Header=BB0_2 Depth=1
	v_cvt_f32_u32_e32 v2, s18
	s_sub_co_i32 s20, 0, s18
	s_delay_alu instid0(VALU_DEP_1) | instskip(NEXT) | instid1(TRANS32_DEP_1)
	v_rcp_iflag_f32_e32 v2, v2
	v_mul_f32_e32 v2, 0x4f7ffffe, v2
	s_delay_alu instid0(VALU_DEP_1) | instskip(SKIP_1) | instid1(VALU_DEP_1)
	v_cvt_u32_f32_e32 v2, v2
	s_wait_alu 0xfffe
	v_mul_lo_u32 v6, s20, v2
	s_delay_alu instid0(VALU_DEP_1) | instskip(NEXT) | instid1(VALU_DEP_1)
	v_mul_hi_u32 v6, v2, v6
	v_add_nc_u32_e32 v2, v2, v6
	s_delay_alu instid0(VALU_DEP_1) | instskip(NEXT) | instid1(VALU_DEP_1)
	v_mul_hi_u32 v2, v7, v2
	v_mul_lo_u32 v6, v2, s18
	v_add_nc_u32_e32 v9, 1, v2
	s_delay_alu instid0(VALU_DEP_2) | instskip(NEXT) | instid1(VALU_DEP_1)
	v_sub_nc_u32_e32 v6, v7, v6
	v_subrev_nc_u32_e32 v10, s18, v6
	v_cmp_le_u32_e32 vcc_lo, s18, v6
	s_wait_alu 0xfffd
	s_delay_alu instid0(VALU_DEP_2) | instskip(SKIP_2) | instid1(VALU_DEP_3)
	v_cndmask_b32_e32 v6, v6, v10, vcc_lo
	v_mov_b32_e32 v10, v5
	v_cndmask_b32_e32 v2, v2, v9, vcc_lo
	v_cmp_le_u32_e32 vcc_lo, s18, v6
	s_delay_alu instid0(VALU_DEP_2) | instskip(SKIP_1) | instid1(VALU_DEP_1)
	v_add_nc_u32_e32 v9, 1, v2
	s_wait_alu 0xfffd
	v_cndmask_b32_e32 v9, v2, v9, vcc_lo
.LBB0_6:                                ;   in Loop: Header=BB0_2 Depth=1
	s_wait_alu 0xfffe
	s_or_b32 exec_lo, exec_lo, s2
	s_load_b64 s[20:21], s[12:13], 0x0
	v_mul_lo_u32 v2, v10, s18
	v_mul_lo_u32 v6, v9, s19
	v_mad_co_u64_u32 v[11:12], null, v9, s18, 0
	s_add_nc_u64 s[14:15], s[14:15], 1
	s_add_nc_u64 s[12:13], s[12:13], 8
	s_wait_alu 0xfffe
	v_cmp_ge_u64_e64 s2, s[14:15], s[6:7]
	s_add_nc_u64 s[16:17], s[16:17], 8
	s_delay_alu instid0(VALU_DEP_2) | instskip(NEXT) | instid1(VALU_DEP_3)
	v_add3_u32 v2, v12, v6, v2
	v_sub_co_u32 v6, vcc_lo, v7, v11
	s_wait_alu 0xfffd
	s_delay_alu instid0(VALU_DEP_2) | instskip(SKIP_3) | instid1(VALU_DEP_2)
	v_sub_co_ci_u32_e32 v2, vcc_lo, v8, v2, vcc_lo
	s_and_b32 vcc_lo, exec_lo, s2
	s_wait_kmcnt 0x0
	v_mul_lo_u32 v7, s21, v6
	v_mul_lo_u32 v2, s20, v2
	v_mad_co_u64_u32 v[3:4], null, s20, v6, v[3:4]
	s_delay_alu instid0(VALU_DEP_1)
	v_add3_u32 v4, v7, v4, v2
	s_wait_alu 0xfffe
	s_cbranch_vccnz .LBB0_8
; %bb.7:                                ;   in Loop: Header=BB0_2 Depth=1
	v_dual_mov_b32 v7, v9 :: v_dual_mov_b32 v8, v10
	s_branch .LBB0_2
.LBB0_8:
	s_lshl_b64 s[2:3], s[6:7], 3
	v_mul_hi_u32 v2, 0xaaaaaaab, v1
	s_wait_alu 0xfffe
	s_add_nc_u64 s[2:3], s[10:11], s[2:3]
	s_load_b64 s[0:1], s[0:1], 0x20
	s_load_b64 s[2:3], s[2:3], 0x0
	v_mul_hi_u32 v5, 0x3c3c3c4, v0
	s_delay_alu instid0(VALU_DEP_2) | instskip(NEXT) | instid1(VALU_DEP_2)
	v_lshrrev_b32_e32 v2, 1, v2
	v_mul_u32_u24_e32 v5, 0x44, v5
	s_delay_alu instid0(VALU_DEP_2) | instskip(NEXT) | instid1(VALU_DEP_2)
	v_lshl_add_u32 v2, v2, 1, v2
	v_sub_nc_u32_e32 v84, v0, v5
	s_delay_alu instid0(VALU_DEP_2)
	v_sub_nc_u32_e32 v1, v1, v2
	s_wait_kmcnt 0x0
	v_cmp_gt_u64_e32 vcc_lo, s[0:1], v[9:10]
	v_mul_lo_u32 v6, s2, v10
	v_mul_lo_u32 v7, s3, v9
	v_mad_co_u64_u32 v[3:4], null, s2, v9, v[3:4]
	v_mul_u32_u24_e32 v2, 0x2a9, v1
	s_delay_alu instid0(VALU_DEP_1) | instskip(NEXT) | instid1(VALU_DEP_3)
	v_lshlrev_b32_e32 v218, 4, v2
	v_add3_u32 v4, v7, v4, v6
	s_delay_alu instid0(VALU_DEP_1)
	v_lshlrev_b64_e32 v[86:87], 4, v[3:4]
	s_and_saveexec_b32 s1, vcc_lo
	s_cbranch_execz .LBB0_12
; %bb.9:
	v_mov_b32_e32 v85, 0
	s_delay_alu instid0(VALU_DEP_2) | instskip(SKIP_2) | instid1(VALU_DEP_3)
	v_add_co_u32 v0, s0, s8, v86
	s_wait_alu 0xf1ff
	v_add_co_ci_u32_e64 v1, s0, s9, v87, s0
	v_lshlrev_b64_e32 v[3:4], 4, v[84:85]
	s_mov_b32 s2, exec_lo
	s_delay_alu instid0(VALU_DEP_1) | instskip(SKIP_1) | instid1(VALU_DEP_2)
	v_add_co_u32 v40, s0, v0, v3
	s_wait_alu 0xf1ff
	v_add_co_ci_u32_e64 v41, s0, v1, v4, s0
	v_lshlrev_b32_e32 v3, 4, v84
	s_clause 0x9
	global_load_b128 v[4:7], v[40:41], off
	global_load_b128 v[8:11], v[40:41], off offset:1088
	global_load_b128 v[12:15], v[40:41], off offset:2176
	;; [unrolled: 1-line block ×9, first 2 shown]
	v_add3_u32 v3, 0, v218, v3
	s_wait_loadcnt 0x9
	ds_store_b128 v3, v[4:7]
	s_wait_loadcnt 0x8
	ds_store_b128 v3, v[8:11] offset:1088
	s_wait_loadcnt 0x7
	ds_store_b128 v3, v[12:15] offset:2176
	;; [unrolled: 2-line block ×9, first 2 shown]
	v_cmpx_eq_u32_e32 0x43, v84
	s_cbranch_execz .LBB0_11
; %bb.10:
	global_load_b128 v[4:7], v[0:1], off offset:10880
	v_mov_b32_e32 v84, 0x43
	s_wait_loadcnt 0x0
	ds_store_b128 v3, v[4:7] offset:9808
.LBB0_11:
	s_wait_alu 0xfffe
	s_or_b32 exec_lo, exec_lo, s2
.LBB0_12:
	s_wait_alu 0xfffe
	s_or_b32 exec_lo, exec_lo, s1
	v_lshl_add_u32 v216, v2, 4, 0
	v_lshlrev_b32_e32 v10, 4, v84
	global_wb scope:SCOPE_SE
	s_wait_dscnt 0x0
	s_barrier_signal -1
	s_barrier_wait -1
	global_inv scope:SCOPE_SE
	v_add_nc_u32_e32 v217, v216, v10
	v_sub_nc_u32_e32 v11, v216, v10
	s_mov_b32 s1, exec_lo
                                        ; implicit-def: $vgpr4_vgpr5
	ds_load_b64 v[6:7], v217
	ds_load_b64 v[8:9], v11 offset:10880
	s_wait_dscnt 0x0
	v_add_f64_e32 v[0:1], v[6:7], v[8:9]
	v_add_f64_e64 v[2:3], v[6:7], -v[8:9]
	v_cmpx_ne_u32_e32 0, v84
	s_wait_alu 0xfffe
	s_xor_b32 s1, exec_lo, s1
	s_cbranch_execz .LBB0_14
; %bb.13:
	v_mov_b32_e32 v85, 0
	v_add_f64_e32 v[14:15], v[6:7], v[8:9]
	v_add_f64_e64 v[16:17], v[6:7], -v[8:9]
	s_delay_alu instid0(VALU_DEP_3) | instskip(NEXT) | instid1(VALU_DEP_1)
	v_lshlrev_b64_e32 v[0:1], 4, v[84:85]
	v_add_co_u32 v0, s0, s4, v0
	s_wait_alu 0xf1ff
	s_delay_alu instid0(VALU_DEP_2)
	v_add_co_ci_u32_e64 v1, s0, s5, v1, s0
	global_load_b128 v[2:5], v[0:1], off offset:10608
	ds_load_b64 v[0:1], v11 offset:10888
	ds_load_b64 v[12:13], v217 offset:8
	s_wait_dscnt 0x0
	v_add_f64_e32 v[6:7], v[0:1], v[12:13]
	v_add_f64_e64 v[0:1], v[12:13], -v[0:1]
	s_wait_loadcnt 0x0
	v_fma_f64 v[8:9], v[16:17], v[4:5], v[14:15]
	v_fma_f64 v[12:13], -v[16:17], v[4:5], v[14:15]
	s_delay_alu instid0(VALU_DEP_3) | instskip(SKIP_1) | instid1(VALU_DEP_4)
	v_fma_f64 v[14:15], v[6:7], v[4:5], -v[0:1]
	v_fma_f64 v[4:5], v[6:7], v[4:5], v[0:1]
	v_fma_f64 v[0:1], -v[6:7], v[2:3], v[8:9]
	s_delay_alu instid0(VALU_DEP_4) | instskip(NEXT) | instid1(VALU_DEP_4)
	v_fma_f64 v[6:7], v[6:7], v[2:3], v[12:13]
	v_fma_f64 v[8:9], v[16:17], v[2:3], v[14:15]
	s_delay_alu instid0(VALU_DEP_4)
	v_fma_f64 v[2:3], v[16:17], v[2:3], v[4:5]
	v_dual_mov_b32 v4, v84 :: v_dual_mov_b32 v5, v85
	ds_store_b128 v11, v[6:9] offset:10880
.LBB0_14:
	s_wait_alu 0xfffe
	s_and_not1_saveexec_b32 s0, s1
	s_cbranch_execz .LBB0_16
; %bb.15:
	ds_load_b128 v[4:7], v216 offset:5440
	s_wait_dscnt 0x0
	v_add_f64_e32 v[12:13], v[4:5], v[4:5]
	v_mul_f64_e32 v[14:15], -2.0, v[6:7]
	v_mov_b32_e32 v4, 0
	v_mov_b32_e32 v5, 0
	ds_store_b128 v216, v[12:15] offset:5440
.LBB0_16:
	s_wait_alu 0xfffe
	s_or_b32 exec_lo, exec_lo, s0
	v_lshlrev_b64_e32 v[4:5], 4, v[4:5]
	s_add_nc_u64 s[0:1], s[4:5], 0x2970
	v_add3_u32 v85, 0, v10, v218
	s_mov_b32 s2, 0x6ed5f1bb
	s_mov_b32 s6, 0x6c9a05f6
	;; [unrolled: 1-line block ×3, first 2 shown]
	s_wait_alu 0xfffe
	v_add_co_u32 v24, s0, s0, v4
	s_wait_alu 0xf1ff
	v_add_co_ci_u32_e64 v25, s0, s1, v5, s0
	s_mov_b32 s10, 0x910ea3b9
	s_mov_b32 s14, 0xacd6c6b4
	;; [unrolled: 1-line block ×3, first 2 shown]
	s_clause 0x1
	global_load_b128 v[4:7], v[24:25], off offset:1088
	global_load_b128 v[12:15], v[24:25], off offset:2176
	ds_store_b128 v217, v[0:3]
	ds_load_b128 v[0:3], v217 offset:1088
	ds_load_b128 v[16:19], v11 offset:9792
	global_load_b128 v[20:23], v[24:25], off offset:3264
	s_mov_b32 s3, 0xbfe348c8
	s_mov_b32 s7, 0xbfe9895b
	;; [unrolled: 1-line block ×18, first 2 shown]
	s_wait_dscnt 0x0
	v_add_f64_e32 v[8:9], v[0:1], v[16:17]
	v_add_f64_e32 v[26:27], v[18:19], v[2:3]
	v_add_f64_e64 v[16:17], v[0:1], -v[16:17]
	v_add_f64_e64 v[0:1], v[2:3], -v[18:19]
	s_mov_b32 s35, 0x3fc7851a
	s_wait_alu 0xfffe
	s_mov_b32 s34, s14
	s_mov_b32 s24, 0x3259b75e
	s_mov_b32 s26, 0xeb564b22
	s_mov_b32 s43, 0xbfd71e95
	s_mov_b32 s25, 0x3fb79ee6
	s_mov_b32 s27, 0xbfefdd0d
	s_mov_b32 s42, s36
	s_mov_b32 s48, 0x2a9d6da3
	s_mov_b32 s28, 0x75d4884
	s_mov_b32 s49, 0x3fe58eea
	s_mov_b32 s29, 0x3fe7a5f6
	s_mov_b32 s53, 0x3fe9895b
	s_mov_b32 s51, 0x3fe0d888
	s_mov_b32 s52, s6
	s_mov_b32 s50, s12
	s_mov_b32 s55, 0x3fefdd0d
	s_mov_b32 s41, 0xbfe58eea
	s_wait_alu 0xfffe
	s_mov_b32 s54, s26
	s_mov_b32 s40, s48
	;; [unrolled: 1-line block ×6, first 2 shown]
	s_mov_b32 s1, exec_lo
	s_wait_loadcnt 0x2
	s_delay_alu instid0(VALU_DEP_2) | instskip(NEXT) | instid1(VALU_DEP_2)
	v_fma_f64 v[2:3], v[16:17], v[6:7], v[8:9]
	v_fma_f64 v[18:19], v[26:27], v[6:7], v[0:1]
	v_fma_f64 v[8:9], -v[16:17], v[6:7], v[8:9]
	v_fma_f64 v[28:29], v[26:27], v[6:7], -v[0:1]
	s_delay_alu instid0(VALU_DEP_4) | instskip(NEXT) | instid1(VALU_DEP_4)
	v_fma_f64 v[0:1], -v[26:27], v[4:5], v[2:3]
	v_fma_f64 v[2:3], v[16:17], v[4:5], v[18:19]
	s_delay_alu instid0(VALU_DEP_4) | instskip(NEXT) | instid1(VALU_DEP_4)
	v_fma_f64 v[6:7], v[26:27], v[4:5], v[8:9]
	v_fma_f64 v[8:9], v[16:17], v[4:5], v[28:29]
	ds_store_b128 v217, v[0:3] offset:1088
	ds_store_b128 v11, v[6:9] offset:9792
	ds_load_b128 v[0:3], v217 offset:2176
	ds_load_b128 v[4:7], v11 offset:8704
	global_load_b128 v[16:19], v[24:25], off offset:4352
	s_wait_dscnt 0x0
	v_add_f64_e32 v[8:9], v[0:1], v[4:5]
	v_add_f64_e32 v[24:25], v[6:7], v[2:3]
	v_add_f64_e64 v[26:27], v[0:1], -v[4:5]
	v_add_f64_e64 v[0:1], v[2:3], -v[6:7]
	s_wait_loadcnt 0x2
	s_delay_alu instid0(VALU_DEP_2) | instskip(NEXT) | instid1(VALU_DEP_2)
	v_fma_f64 v[2:3], v[26:27], v[14:15], v[8:9]
	v_fma_f64 v[4:5], v[24:25], v[14:15], v[0:1]
	v_fma_f64 v[6:7], -v[26:27], v[14:15], v[8:9]
	v_fma_f64 v[8:9], v[24:25], v[14:15], -v[0:1]
	s_delay_alu instid0(VALU_DEP_4) | instskip(NEXT) | instid1(VALU_DEP_4)
	v_fma_f64 v[0:1], -v[24:25], v[12:13], v[2:3]
	v_fma_f64 v[2:3], v[26:27], v[12:13], v[4:5]
	s_delay_alu instid0(VALU_DEP_4) | instskip(NEXT) | instid1(VALU_DEP_4)
	v_fma_f64 v[4:5], v[24:25], v[12:13], v[6:7]
	v_fma_f64 v[6:7], v[26:27], v[12:13], v[8:9]
	ds_store_b128 v217, v[0:3] offset:2176
	ds_store_b128 v11, v[4:7] offset:8704
	ds_load_b128 v[0:3], v217 offset:3264
	ds_load_b128 v[4:7], v11 offset:7616
	s_wait_dscnt 0x0
	v_add_f64_e32 v[8:9], v[0:1], v[4:5]
	v_add_f64_e32 v[12:13], v[6:7], v[2:3]
	v_add_f64_e64 v[14:15], v[0:1], -v[4:5]
	v_add_f64_e64 v[0:1], v[2:3], -v[6:7]
	s_wait_loadcnt 0x1
	s_delay_alu instid0(VALU_DEP_2) | instskip(NEXT) | instid1(VALU_DEP_2)
	v_fma_f64 v[2:3], v[14:15], v[22:23], v[8:9]
	v_fma_f64 v[4:5], v[12:13], v[22:23], v[0:1]
	v_fma_f64 v[6:7], -v[14:15], v[22:23], v[8:9]
	v_fma_f64 v[8:9], v[12:13], v[22:23], -v[0:1]
	s_delay_alu instid0(VALU_DEP_4) | instskip(NEXT) | instid1(VALU_DEP_4)
	v_fma_f64 v[0:1], -v[12:13], v[20:21], v[2:3]
	v_fma_f64 v[2:3], v[14:15], v[20:21], v[4:5]
	s_delay_alu instid0(VALU_DEP_4) | instskip(NEXT) | instid1(VALU_DEP_4)
	v_fma_f64 v[4:5], v[12:13], v[20:21], v[6:7]
	v_fma_f64 v[6:7], v[14:15], v[20:21], v[8:9]
	ds_store_b128 v217, v[0:3] offset:3264
	ds_store_b128 v11, v[4:7] offset:7616
	ds_load_b128 v[0:3], v217 offset:4352
	ds_load_b128 v[4:7], v11 offset:6528
	s_wait_dscnt 0x0
	v_add_f64_e32 v[8:9], v[0:1], v[4:5]
	v_add_f64_e32 v[12:13], v[6:7], v[2:3]
	v_add_f64_e64 v[14:15], v[0:1], -v[4:5]
	v_add_f64_e64 v[0:1], v[2:3], -v[6:7]
	s_wait_loadcnt 0x0
	s_delay_alu instid0(VALU_DEP_2) | instskip(NEXT) | instid1(VALU_DEP_2)
	v_fma_f64 v[2:3], v[14:15], v[18:19], v[8:9]
	v_fma_f64 v[4:5], v[12:13], v[18:19], v[0:1]
	v_fma_f64 v[6:7], -v[14:15], v[18:19], v[8:9]
	v_fma_f64 v[8:9], v[12:13], v[18:19], -v[0:1]
	s_delay_alu instid0(VALU_DEP_4) | instskip(NEXT) | instid1(VALU_DEP_4)
	v_fma_f64 v[0:1], -v[12:13], v[16:17], v[2:3]
	v_fma_f64 v[2:3], v[14:15], v[16:17], v[4:5]
	s_delay_alu instid0(VALU_DEP_4) | instskip(NEXT) | instid1(VALU_DEP_4)
	v_fma_f64 v[4:5], v[12:13], v[16:17], v[6:7]
	v_fma_f64 v[6:7], v[14:15], v[16:17], v[8:9]
	ds_store_b128 v217, v[0:3] offset:4352
	ds_store_b128 v11, v[4:7] offset:6528
	global_wb scope:SCOPE_SE
	s_wait_dscnt 0x0
	s_barrier_signal -1
	s_barrier_wait -1
	global_inv scope:SCOPE_SE
	global_wb scope:SCOPE_SE
	s_barrier_signal -1
	s_barrier_wait -1
	global_inv scope:SCOPE_SE
	ds_load_b128 v[16:19], v85 offset:10240
	ds_load_b128 v[32:35], v85 offset:640
	ds_load_b128 v[20:23], v217
	ds_load_b128 v[24:27], v85 offset:9600
	ds_load_b128 v[40:43], v85 offset:1280
	ds_load_b128 v[44:47], v85 offset:1920
	ds_load_b128 v[28:31], v85 offset:8960
	ds_load_b128 v[36:39], v85 offset:8320
	ds_load_b128 v[56:59], v85 offset:2560
	ds_load_b128 v[64:67], v85 offset:3200
	ds_load_b128 v[48:51], v85 offset:7680
	s_wait_dscnt 0x9
	v_add_f64_e64 v[112:113], v[34:35], -v[18:19]
	v_add_f64_e32 v[120:121], v[34:35], v[18:19]
	s_wait_dscnt 0x6
	v_add_f64_e64 v[90:91], v[42:43], -v[26:27]
	v_add_f64_e32 v[88:89], v[42:43], v[26:27]
	v_add_f64_e32 v[148:149], v[32:33], v[16:17]
	v_add_f64_e64 v[150:151], v[32:33], -v[16:17]
	s_wait_dscnt 0x4
	v_add_f64_e64 v[96:97], v[46:47], -v[30:31]
	v_add_f64_e32 v[92:93], v[46:47], v[30:31]
	v_add_f64_e32 v[94:95], v[40:41], v[24:25]
	v_add_f64_e64 v[98:99], v[40:41], -v[24:25]
	v_add_f64_e32 v[100:101], v[44:45], v[28:29]
	v_add_f64_e64 v[110:111], v[44:45], -v[28:29]
	s_wait_dscnt 0x2
	v_add_f64_e64 v[108:109], v[58:59], -v[38:39]
	v_add_f64_e32 v[102:103], v[58:59], v[38:39]
	v_add_f64_e32 v[104:105], v[56:57], v[36:37]
	v_add_f64_e64 v[122:123], v[56:57], -v[36:37]
	s_wait_dscnt 0x0
	v_add_f64_e64 v[114:115], v[66:67], -v[50:51]
	v_add_f64_e32 v[106:107], v[66:67], v[50:51]
	v_add_f64_e32 v[116:117], v[64:65], v[48:49]
	v_add_f64_e64 v[130:131], v[64:65], -v[48:49]
	v_mul_f64_e32 v[152:153], s[6:7], v[112:113]
	v_mul_f64_e32 v[154:155], s[2:3], v[120:121]
	;; [unrolled: 1-line block ×28, first 2 shown]
	v_fma_f64 v[6:7], v[148:149], s[2:3], -v[152:153]
	v_fma_f64 v[10:11], v[150:151], s[6:7], v[154:155]
	v_fma_f64 v[12:13], v[148:149], s[10:11], -v[160:161]
	v_fma_f64 v[14:15], v[150:151], s[12:13], v[166:167]
	v_fma_f64 v[52:53], v[148:149], s[16:17], v[0:1]
	v_fma_f64 v[54:55], v[150:151], s[34:35], v[2:3]
	v_fma_f64 v[0:1], v[148:149], s[16:17], -v[0:1]
	v_fma_f64 v[2:3], v[150:151], s[14:15], v[2:3]
	v_fma_f64 v[68:69], v[94:95], s[18:19], -v[156:157]
	v_fma_f64 v[70:71], v[98:99], s[30:31], v[158:159]
	v_fma_f64 v[72:73], v[94:95], s[20:21], -v[162:163]
	v_fma_f64 v[74:75], v[98:99], s[38:39], v[164:165]
	v_fma_f64 v[76:77], v[94:95], s[22:23], v[4:5]
	v_fma_f64 v[78:79], v[98:99], s[42:43], v[8:9]
	v_fma_f64 v[4:5], v[94:95], s[22:23], -v[4:5]
	v_fma_f64 v[8:9], v[98:99], s[36:37], v[8:9]
	;; [unrolled: 8-line block ×4, first 2 shown]
	v_fma_f64 v[219:220], v[116:117], s[24:25], -v[180:181]
	v_fma_f64 v[221:222], v[130:131], s[54:55], v[184:185]
	v_fma_f64 v[223:224], v[116:117], s[22:23], -v[190:191]
	v_fma_f64 v[225:226], v[130:131], s[42:43], v[196:197]
	v_add_f64_e32 v[6:7], v[20:21], v[6:7]
	v_add_f64_e32 v[10:11], v[22:23], v[10:11]
	;; [unrolled: 1-line block ×8, first 2 shown]
	ds_load_b128 v[52:55], v85 offset:7040
	v_add_f64_e32 v[6:7], v[68:69], v[6:7]
	v_add_f64_e32 v[10:11], v[70:71], v[10:11]
	ds_load_b128 v[68:71], v85 offset:3840
	v_add_f64_e32 v[12:13], v[72:73], v[12:13]
	v_add_f64_e32 v[14:15], v[74:75], v[14:15]
	;; [unrolled: 1-line block ×6, first 2 shown]
	v_mul_f64_e32 v[4:5], s[6:7], v[114:115]
	v_mul_f64_e32 v[8:9], s[2:3], v[106:107]
	ds_load_b128 v[76:79], v85 offset:4480
	ds_load_b128 v[60:63], v85 offset:6400
	s_wait_dscnt 0x2
	v_add_f64_e64 v[128:129], v[70:71], -v[54:55]
	v_add_f64_e32 v[118:119], v[70:71], v[54:55]
	v_add_f64_e32 v[124:125], v[68:69], v[52:53]
	s_wait_dscnt 0x0
	v_add_f64_e32 v[126:127], v[78:79], v[62:63]
	v_add_f64_e32 v[6:7], v[132:133], v[6:7]
	;; [unrolled: 1-line block ×3, first 2 shown]
	v_add_f64_e64 v[132:133], v[78:79], -v[62:63]
	v_add_f64_e32 v[12:13], v[136:137], v[12:13]
	v_add_f64_e32 v[14:15], v[138:139], v[14:15]
	;; [unrolled: 1-line block ×6, first 2 shown]
	v_add_f64_e64 v[138:139], v[68:69], -v[52:53]
	v_fma_f64 v[227:228], v[116:117], s[2:3], v[4:5]
	v_fma_f64 v[229:230], v[130:131], s[52:53], v[8:9]
	v_fma_f64 v[4:5], v[116:117], s[2:3], -v[4:5]
	v_fma_f64 v[8:9], v[130:131], s[6:7], v[8:9]
	ds_load_b128 v[80:83], v85 offset:5120
	ds_load_b128 v[72:75], v85 offset:5760
	v_add_f64_e64 v[144:145], v[76:77], -v[60:61]
	global_wb scope:SCOPE_SE
	s_wait_dscnt 0x0
	s_barrier_signal -1
	s_barrier_wait -1
	global_inv scope:SCOPE_SE
	v_mul_f64_e32 v[188:189], s[40:41], v[128:129]
	v_mul_f64_e32 v[192:193], s[28:29], v[118:119]
	;; [unrolled: 1-line block ×7, first 2 shown]
	v_add_f64_e64 v[142:143], v[82:83], -v[74:75]
	v_add_f64_e32 v[6:7], v[194:195], v[6:7]
	v_add_f64_e32 v[10:11], v[200:201], v[10:11]
	v_mul_f64_e32 v[194:195], s[14:15], v[132:133]
	v_add_f64_e32 v[12:13], v[202:203], v[12:13]
	v_add_f64_e32 v[14:15], v[206:207], v[14:15]
	;; [unrolled: 1-line block ×8, first 2 shown]
	v_mul_f64_e32 v[202:203], s[16:17], v[126:127]
	v_mul_f64_e32 v[206:207], s[48:49], v[132:133]
	;; [unrolled: 1-line block ×4, first 2 shown]
	v_fma_f64 v[235:236], v[124:125], s[28:29], -v[188:189]
	v_fma_f64 v[237:238], v[138:139], s[40:41], v[192:193]
	v_fma_f64 v[239:240], v[124:125], s[16:17], -v[198:199]
	v_fma_f64 v[241:242], v[138:139], s[14:15], v[204:205]
	v_fma_f64 v[243:244], v[124:125], s[20:21], v[140:141]
	v_fma_f64 v[245:246], v[124:125], s[20:21], -v[140:141]
	v_fma_f64 v[247:248], v[138:139], s[38:39], v[146:147]
	v_add_f64_e32 v[140:141], v[80:81], v[72:73]
	v_mul_f64_e32 v[210:211], s[44:45], v[142:143]
	v_add_f64_e32 v[6:7], v[219:220], v[6:7]
	v_fma_f64 v[219:220], v[138:139], s[46:47], v[146:147]
	v_add_f64_e32 v[10:11], v[221:222], v[10:11]
	v_add_f64_e32 v[12:13], v[223:224], v[12:13]
	;; [unrolled: 1-line block ×7, first 2 shown]
	v_add_f64_e64 v[146:147], v[80:81], -v[72:73]
	v_mul_f64_e32 v[200:201], s[38:39], v[142:143]
	v_mul_f64_e32 v[208:209], s[20:21], v[136:137]
	;; [unrolled: 1-line block ×5, first 2 shown]
	v_fma_f64 v[225:226], v[134:135], s[16:17], -v[194:195]
	v_fma_f64 v[227:228], v[144:145], s[14:15], v[202:203]
	v_fma_f64 v[229:230], v[134:135], s[28:29], -v[206:207]
	v_fma_f64 v[249:250], v[144:145], s[48:49], v[212:213]
	v_fma_f64 v[251:252], v[134:135], s[18:19], v[231:232]
	v_fma_f64 v[231:232], v[134:135], s[18:19], -v[231:232]
	v_add_f64_e32 v[6:7], v[235:236], v[6:7]
	v_fma_f64 v[235:236], v[144:145], s[30:31], v[233:234]
	v_fma_f64 v[233:234], v[144:145], s[44:45], v[233:234]
	v_add_f64_e32 v[10:11], v[237:238], v[10:11]
	v_add_f64_e32 v[12:13], v[239:240], v[12:13]
	;; [unrolled: 1-line block ×7, first 2 shown]
	v_fma_f64 v[223:224], v[140:141], s[20:21], -v[200:201]
	v_fma_f64 v[237:238], v[146:147], s[38:39], v[208:209]
	v_fma_f64 v[239:240], v[140:141], s[18:19], -v[210:211]
	v_fma_f64 v[241:242], v[146:147], s[44:45], v[214:215]
	v_fma_f64 v[243:244], v[140:141], s[24:25], v[4:5]
	;; [unrolled: 1-line block ×3, first 2 shown]
	v_fma_f64 v[4:5], v[140:141], s[24:25], -v[4:5]
	v_fma_f64 v[247:248], v[146:147], s[54:55], v[8:9]
	v_add_f64_e32 v[6:7], v[225:226], v[6:7]
	v_add_f64_e32 v[8:9], v[227:228], v[10:11]
	;; [unrolled: 1-line block ×16, first 2 shown]
	v_cmpx_gt_u32_e32 40, v84
	s_cbranch_execz .LBB0_18
; %bb.17:
	v_add_f64_e32 v[34:35], v[22:23], v[34:35]
	v_add_f64_e32 v[32:33], v[20:21], v[32:33]
	s_delay_alu instid0(VALU_DEP_2) | instskip(NEXT) | instid1(VALU_DEP_2)
	v_add_f64_e32 v[34:35], v[34:35], v[42:43]
	v_add_f64_e32 v[32:33], v[32:33], v[40:41]
	v_mul_f64_e32 v[40:41], s[42:43], v[150:151]
	s_delay_alu instid0(VALU_DEP_3) | instskip(NEXT) | instid1(VALU_DEP_3)
	v_add_f64_e32 v[34:35], v[34:35], v[46:47]
	v_add_f64_e32 v[32:33], v[32:33], v[44:45]
	s_delay_alu instid0(VALU_DEP_2) | instskip(NEXT) | instid1(VALU_DEP_2)
	v_add_f64_e32 v[34:35], v[34:35], v[58:59]
	v_add_f64_e32 v[32:33], v[32:33], v[56:57]
	v_mul_f64_e32 v[56:57], s[46:47], v[112:113]
	v_mul_f64_e32 v[58:59], s[40:41], v[112:113]
	s_delay_alu instid0(VALU_DEP_4) | instskip(NEXT) | instid1(VALU_DEP_4)
	v_add_f64_e32 v[34:35], v[34:35], v[66:67]
	v_add_f64_e32 v[32:33], v[32:33], v[64:65]
	s_delay_alu instid0(VALU_DEP_4) | instskip(SKIP_1) | instid1(VALU_DEP_4)
	v_fma_f64 v[66:67], v[148:149], s[20:21], -v[56:57]
	v_fma_f64 v[56:57], v[148:149], s[20:21], v[56:57]
	v_add_f64_e32 v[34:35], v[34:35], v[70:71]
	s_delay_alu instid0(VALU_DEP_4)
	v_add_f64_e32 v[32:33], v[32:33], v[68:69]
	v_fma_f64 v[68:69], v[148:149], s[28:29], -v[58:59]
	v_fma_f64 v[58:59], v[148:149], s[28:29], v[58:59]
	v_add_f64_e32 v[66:67], v[20:21], v[66:67]
	v_add_f64_e32 v[56:57], v[20:21], v[56:57]
	;; [unrolled: 1-line block ×6, first 2 shown]
	s_delay_alu instid0(VALU_DEP_4) | instskip(NEXT) | instid1(VALU_DEP_4)
	v_add_f64_e32 v[34:35], v[34:35], v[82:83]
	v_add_f64_e32 v[32:33], v[32:33], v[80:81]
	v_mul_f64_e32 v[82:83], s[20:21], v[94:95]
	s_delay_alu instid0(VALU_DEP_3) | instskip(NEXT) | instid1(VALU_DEP_3)
	v_add_f64_e32 v[34:35], v[34:35], v[74:75]
	v_add_f64_e32 v[32:33], v[32:33], v[72:73]
	s_delay_alu instid0(VALU_DEP_3) | instskip(SKIP_1) | instid1(VALU_DEP_4)
	v_add_f64_e32 v[82:83], v[82:83], v[162:163]
	v_mul_f64_e32 v[162:163], s[26:27], v[98:99]
	v_add_f64_e32 v[34:35], v[34:35], v[62:63]
	s_delay_alu instid0(VALU_DEP_4) | instskip(SKIP_1) | instid1(VALU_DEP_3)
	v_add_f64_e32 v[32:33], v[32:33], v[60:61]
	v_mul_f64_e32 v[60:61], s[42:43], v[112:113]
	v_add_f64_e32 v[34:35], v[34:35], v[54:55]
	s_delay_alu instid0(VALU_DEP_3)
	v_add_f64_e32 v[32:33], v[32:33], v[52:53]
	v_mul_f64_e32 v[52:53], s[44:45], v[112:113]
	v_mul_f64_e32 v[54:55], s[26:27], v[112:113]
	;; [unrolled: 1-line block ×3, first 2 shown]
	v_fma_f64 v[70:71], v[148:149], s[22:23], -v[60:61]
	v_fma_f64 v[60:61], v[148:149], s[22:23], v[60:61]
	v_add_f64_e32 v[34:35], v[34:35], v[50:51]
	v_add_f64_e32 v[32:33], v[32:33], v[48:49]
	v_fma_f64 v[50:51], v[120:121], s[22:23], v[40:41]
	v_fma_f64 v[40:41], v[120:121], s[22:23], -v[40:41]
	v_add_f64_e32 v[112:113], v[112:113], v[176:177]
	v_fma_f64 v[62:63], v[148:149], s[18:19], -v[52:53]
	v_fma_f64 v[52:53], v[148:149], s[18:19], v[52:53]
	v_fma_f64 v[64:65], v[148:149], s[24:25], -v[54:55]
	v_fma_f64 v[54:55], v[148:149], s[24:25], v[54:55]
	v_add_f64_e32 v[70:71], v[20:21], v[70:71]
	v_add_f64_e32 v[60:61], v[20:21], v[60:61]
	v_mul_f64_e32 v[176:177], s[30:31], v[138:139]
	v_add_f64_e32 v[34:35], v[34:35], v[38:39]
	v_add_f64_e32 v[32:33], v[32:33], v[36:37]
	v_mul_f64_e32 v[38:39], s[40:41], v[150:151]
	v_add_f64_e32 v[78:79], v[22:23], v[50:51]
	v_mul_f64_e32 v[50:51], s[38:39], v[98:99]
	v_mul_f64_e32 v[36:37], s[46:47], v[150:151]
	v_add_f64_e32 v[80:81], v[22:23], v[40:41]
	v_mul_f64_e32 v[40:41], s[26:27], v[110:111]
	v_add_f64_e32 v[62:63], v[20:21], v[62:63]
	v_add_f64_e32 v[52:53], v[20:21], v[52:53]
	v_add_f64_e32 v[64:65], v[20:21], v[64:65]
	v_add_f64_e32 v[54:55], v[20:21], v[54:55]
	v_add_f64_e32 v[30:31], v[34:35], v[30:31]
	v_add_f64_e32 v[28:29], v[32:33], v[28:29]
	v_fma_f64 v[48:49], v[120:121], s[28:29], v[38:39]
	v_fma_f64 v[38:39], v[120:121], s[28:29], -v[38:39]
	v_add_f64_e64 v[50:51], v[164:165], -v[50:51]
	v_mul_f64_e32 v[34:35], s[26:27], v[150:151]
	v_fma_f64 v[46:47], v[120:121], s[20:21], v[36:37]
	v_fma_f64 v[36:37], v[120:121], s[20:21], -v[36:37]
	v_add_f64_e64 v[40:41], v[178:179], -v[40:41]
	v_mul_f64_e32 v[32:33], s[44:45], v[150:151]
	v_mul_f64_e32 v[164:165], s[26:27], v[90:91]
	;; [unrolled: 1-line block ×3, first 2 shown]
	v_add_f64_e32 v[26:27], v[30:31], v[26:27]
	v_add_f64_e32 v[24:25], v[28:29], v[24:25]
	v_add_f64_e32 v[76:77], v[22:23], v[48:49]
	v_add_f64_e32 v[48:49], v[22:23], v[38:39]
	v_mul_f64_e32 v[38:39], s[52:53], v[122:123]
	v_mul_f64_e32 v[28:29], s[6:7], v[150:151]
	;; [unrolled: 1-line block ×3, first 2 shown]
	v_fma_f64 v[44:45], v[120:121], s[24:25], v[34:35]
	v_fma_f64 v[34:35], v[120:121], s[24:25], -v[34:35]
	v_add_f64_e32 v[74:75], v[22:23], v[46:47]
	v_add_f64_e32 v[46:47], v[22:23], v[36:37]
	v_mul_f64_e32 v[36:37], s[42:43], v[130:131]
	v_fma_f64 v[42:43], v[120:121], s[18:19], v[32:33]
	v_fma_f64 v[32:33], v[120:121], s[18:19], -v[32:33]
	v_add_f64_e32 v[18:19], v[26:27], v[18:19]
	v_add_f64_e32 v[16:17], v[24:25], v[16:17]
	v_mul_f64_e32 v[24:25], s[12:13], v[150:151]
	v_mul_f64_e32 v[26:27], s[10:11], v[148:149]
	v_add_f64_e64 v[38:39], v[186:187], -v[38:39]
	v_add_f64_e64 v[28:29], v[154:155], -v[28:29]
	v_add_f64_e32 v[30:31], v[30:31], v[152:153]
	v_add_f64_e32 v[44:45], v[22:23], v[44:45]
	;; [unrolled: 1-line block ×3, first 2 shown]
	v_mul_f64_e32 v[34:35], s[14:15], v[138:139]
	v_mul_f64_e32 v[154:155], s[6:7], v[146:147]
	v_add_f64_e64 v[36:37], v[196:197], -v[36:37]
	v_add_f64_e32 v[42:43], v[22:23], v[42:43]
	v_add_f64_e32 v[32:33], v[22:23], v[32:33]
	v_mul_f64_e32 v[186:187], s[36:37], v[142:143]
	v_mul_f64_e32 v[196:197], s[30:31], v[108:109]
	v_add_f64_e64 v[24:25], v[166:167], -v[24:25]
	v_add_f64_e32 v[26:27], v[26:27], v[160:161]
	v_mul_f64_e32 v[160:161], s[48:49], v[142:143]
	v_add_f64_e32 v[28:29], v[22:23], v[28:29]
	v_add_f64_e32 v[30:31], v[20:21], v[30:31]
	v_mul_f64_e32 v[166:167], s[6:7], v[96:97]
	v_add_f64_e64 v[34:35], v[204:205], -v[34:35]
	v_mul_f64_e32 v[204:205], s[42:43], v[128:129]
	v_add_f64_e32 v[24:25], v[22:23], v[24:25]
	v_add_f64_e32 v[26:27], v[20:21], v[26:27]
	v_mul_f64_e32 v[22:23], s[48:49], v[144:145]
	v_mul_f64_e32 v[20:21], s[44:45], v[146:147]
	s_delay_alu instid0(VALU_DEP_4) | instskip(NEXT) | instid1(VALU_DEP_4)
	v_add_f64_e32 v[24:25], v[50:51], v[24:25]
	v_add_f64_e32 v[26:27], v[82:83], v[26:27]
	v_mul_f64_e32 v[50:51], s[2:3], v[104:105]
	v_mul_f64_e32 v[82:83], s[18:19], v[94:95]
	v_add_f64_e64 v[22:23], v[212:213], -v[22:23]
	v_add_f64_e64 v[20:21], v[214:215], -v[20:21]
	v_mul_f64_e32 v[212:213], s[12:13], v[142:143]
	v_add_f64_e32 v[24:25], v[40:41], v[24:25]
	v_add_f64_e32 v[26:27], v[112:113], v[26:27]
	;; [unrolled: 1-line block ×3, first 2 shown]
	v_mul_f64_e32 v[40:41], s[22:23], v[116:117]
	v_add_f64_e32 v[82:83], v[82:83], v[156:157]
	v_mul_f64_e32 v[112:113], s[22:23], v[100:101]
	v_mul_f64_e32 v[156:157], s[6:7], v[142:143]
	;; [unrolled: 1-line block ×3, first 2 shown]
	v_add_f64_e32 v[24:25], v[38:39], v[24:25]
	v_mul_f64_e32 v[38:39], s[16:17], v[124:125]
	v_add_f64_e32 v[26:27], v[50:51], v[26:27]
	v_add_f64_e32 v[40:41], v[40:41], v[190:191]
	v_mul_f64_e32 v[50:51], s[30:31], v[98:99]
	v_add_f64_e32 v[112:113], v[112:113], v[168:169]
	v_add_f64_e32 v[30:31], v[82:83], v[30:31]
	v_mul_f64_e32 v[168:169], s[14:15], v[122:123]
	v_mul_f64_e32 v[190:191], s[6:7], v[90:91]
	v_add_f64_e32 v[24:25], v[36:37], v[24:25]
	v_add_f64_e32 v[38:39], v[38:39], v[198:199]
	v_mul_f64_e32 v[36:37], s[28:29], v[134:135]
	v_add_f64_e32 v[26:27], v[40:41], v[26:27]
	v_mul_f64_e32 v[40:41], s[42:43], v[110:111]
	v_add_f64_e64 v[50:51], v[158:159], -v[50:51]
	v_add_f64_e32 v[30:31], v[112:113], v[30:31]
	v_mul_f64_e32 v[158:159], s[48:49], v[146:147]
	v_mul_f64_e32 v[198:199], s[48:49], v[130:131]
	v_add_f64_e32 v[24:25], v[34:35], v[24:25]
	v_mul_f64_e32 v[34:35], s[18:19], v[140:141]
	v_add_f64_e32 v[36:37], v[36:37], v[206:207]
	v_add_f64_e32 v[26:27], v[38:39], v[26:27]
	v_mul_f64_e32 v[38:39], s[12:13], v[122:123]
	v_add_f64_e64 v[40:41], v[170:171], -v[40:41]
	v_add_f64_e32 v[28:29], v[50:51], v[28:29]
	v_mul_f64_e32 v[50:51], s[10:11], v[104:105]
	v_mul_f64_e32 v[170:171], s[14:15], v[108:109]
	;; [unrolled: 1-line block ×3, first 2 shown]
	v_add_f64_e32 v[22:23], v[22:23], v[24:25]
	v_add_f64_e32 v[34:35], v[34:35], v[210:211]
	v_mul_f64_e32 v[210:211], s[12:13], v[146:147]
	v_add_f64_e32 v[24:25], v[36:37], v[26:27]
	v_mul_f64_e32 v[36:37], s[54:55], v[130:131]
	v_add_f64_e64 v[38:39], v[174:175], -v[38:39]
	v_add_f64_e32 v[28:29], v[40:41], v[28:29]
	v_add_f64_e32 v[50:51], v[50:51], v[172:173]
	v_mul_f64_e32 v[40:41], s[24:25], v[116:117]
	v_mul_f64_e32 v[26:27], s[14:15], v[144:145]
	;; [unrolled: 1-line block ×4, first 2 shown]
	v_add_f64_e32 v[22:23], v[20:21], v[22:23]
	v_add_f64_e32 v[20:21], v[34:35], v[24:25]
	v_mul_f64_e32 v[34:35], s[40:41], v[138:139]
	v_add_f64_e64 v[36:37], v[184:185], -v[36:37]
	v_add_f64_e32 v[28:29], v[38:39], v[28:29]
	v_add_f64_e32 v[30:31], v[50:51], v[30:31]
	;; [unrolled: 1-line block ×3, first 2 shown]
	v_mul_f64_e32 v[38:39], s[28:29], v[124:125]
	v_mul_f64_e32 v[24:25], s[38:39], v[146:147]
	v_add_f64_e64 v[26:27], v[202:203], -v[26:27]
	v_mul_f64_e32 v[180:181], s[38:39], v[144:145]
	v_mul_f64_e32 v[184:185], s[36:37], v[146:147]
	;; [unrolled: 1-line block ×3, first 2 shown]
	v_add_f64_e64 v[34:35], v[192:193], -v[34:35]
	v_mul_f64_e32 v[192:193], s[34:35], v[96:97]
	v_add_f64_e32 v[28:29], v[36:37], v[28:29]
	v_mul_f64_e32 v[36:37], s[16:17], v[134:135]
	v_add_f64_e32 v[30:31], v[40:41], v[30:31]
	v_add_f64_e32 v[38:39], v[38:39], v[188:189]
	v_add_f64_e64 v[24:25], v[208:209], -v[24:25]
	v_mul_f64_e32 v[188:189], s[6:7], v[98:99]
	v_mul_f64_e32 v[208:209], s[26:27], v[132:133]
	v_add_f64_e32 v[28:29], v[34:35], v[28:29]
	v_add_f64_e32 v[36:37], v[36:37], v[194:195]
	v_mul_f64_e32 v[34:35], s[20:21], v[140:141]
	v_add_f64_e32 v[30:31], v[38:39], v[30:31]
	v_mul_f64_e32 v[38:39], s[48:49], v[110:111]
	v_mul_f64_e32 v[194:195], s[30:31], v[122:123]
	v_add_f64_e32 v[26:27], v[26:27], v[28:29]
	v_add_f64_e32 v[34:35], v[34:35], v[200:201]
	;; [unrolled: 1-line block ×3, first 2 shown]
	v_mul_f64_e32 v[36:37], s[50:51], v[90:91]
	v_fma_f64 v[40:41], v[92:93], s[28:29], v[38:39]
	v_mul_f64_e32 v[200:201], s[48:49], v[114:115]
	v_add_f64_e32 v[26:27], v[24:25], v[26:27]
	v_add_f64_e32 v[24:25], v[34:35], v[28:29]
	v_mul_f64_e32 v[34:35], s[50:51], v[98:99]
	v_fma_f64 v[30:31], v[94:95], s[10:11], -v[36:37]
	s_delay_alu instid0(VALU_DEP_2) | instskip(NEXT) | instid1(VALU_DEP_2)
	v_fma_f64 v[28:29], v[88:89], s[10:11], v[34:35]
	v_add_f64_e32 v[30:31], v[30:31], v[62:63]
	v_fma_f64 v[34:35], v[88:89], s[10:11], -v[34:35]
	s_delay_alu instid0(VALU_DEP_3) | instskip(NEXT) | instid1(VALU_DEP_2)
	v_add_f64_e32 v[28:29], v[28:29], v[42:43]
	v_add_f64_e32 v[32:33], v[34:35], v[32:33]
	v_fma_f64 v[34:35], v[94:95], s[10:11], v[36:37]
	v_fma_f64 v[36:37], v[92:93], s[28:29], -v[38:39]
	v_fma_f64 v[38:39], v[140:141], s[2:3], v[156:157]
	v_add_f64_e32 v[28:29], v[40:41], v[28:29]
	v_mul_f64_e32 v[40:41], s[48:49], v[96:97]
	v_add_f64_e32 v[34:35], v[34:35], v[52:53]
	v_add_f64_e32 v[32:33], v[36:37], v[32:33]
	v_mul_f64_e32 v[52:53], s[14:15], v[90:91]
	s_delay_alu instid0(VALU_DEP_4) | instskip(SKIP_1) | instid1(VALU_DEP_2)
	v_fma_f64 v[42:43], v[100:101], s[28:29], -v[40:41]
	v_fma_f64 v[36:37], v[100:101], s[28:29], v[40:41]
	v_add_f64_e32 v[30:31], v[42:43], v[30:31]
	v_mul_f64_e32 v[42:43], s[46:47], v[122:123]
	s_delay_alu instid0(VALU_DEP_3) | instskip(NEXT) | instid1(VALU_DEP_2)
	v_add_f64_e32 v[34:35], v[36:37], v[34:35]
	v_fma_f64 v[50:51], v[102:103], s[20:21], v[42:43]
	v_fma_f64 v[36:37], v[102:103], s[20:21], -v[42:43]
	v_fma_f64 v[42:43], v[94:95], s[24:25], v[164:165]
	s_delay_alu instid0(VALU_DEP_3) | instskip(SKIP_1) | instid1(VALU_DEP_4)
	v_add_f64_e32 v[28:29], v[50:51], v[28:29]
	v_mul_f64_e32 v[50:51], s[46:47], v[108:109]
	v_add_f64_e32 v[32:33], v[36:37], v[32:33]
	s_delay_alu instid0(VALU_DEP_4) | instskip(SKIP_1) | instid1(VALU_DEP_4)
	v_add_f64_e32 v[42:43], v[42:43], v[58:59]
	v_mul_f64_e32 v[58:59], s[6:7], v[110:111]
	v_fma_f64 v[62:63], v[104:105], s[20:21], -v[50:51]
	v_fma_f64 v[36:37], v[104:105], s[20:21], v[50:51]
	v_mul_f64_e32 v[50:51], s[14:15], v[98:99]
	s_delay_alu instid0(VALU_DEP_3) | instskip(SKIP_1) | instid1(VALU_DEP_4)
	v_add_f64_e32 v[30:31], v[62:63], v[30:31]
	v_mul_f64_e32 v[62:63], s[14:15], v[130:131]
	v_add_f64_e32 v[34:35], v[36:37], v[34:35]
	s_delay_alu instid0(VALU_DEP_2) | instskip(SKIP_2) | instid1(VALU_DEP_3)
	v_fma_f64 v[82:83], v[106:107], s[16:17], v[62:63]
	v_fma_f64 v[36:37], v[106:107], s[16:17], -v[62:63]
	v_mul_f64_e32 v[62:63], s[30:31], v[110:111]
	v_add_f64_e32 v[28:29], v[82:83], v[28:29]
	v_mul_f64_e32 v[82:83], s[14:15], v[114:115]
	s_delay_alu instid0(VALU_DEP_4) | instskip(NEXT) | instid1(VALU_DEP_4)
	v_add_f64_e32 v[32:33], v[36:37], v[32:33]
	v_fma_f64 v[40:41], v[92:93], s[18:19], v[62:63]
	s_delay_alu instid0(VALU_DEP_3) | instskip(SKIP_2) | instid1(VALU_DEP_3)
	v_fma_f64 v[112:113], v[116:117], s[16:17], -v[82:83]
	v_fma_f64 v[36:37], v[116:117], s[16:17], v[82:83]
	v_mul_f64_e32 v[82:83], s[36:37], v[122:123]
	v_add_f64_e32 v[30:31], v[112:113], v[30:31]
	v_mul_f64_e32 v[112:113], s[54:55], v[138:139]
	s_delay_alu instid0(VALU_DEP_4) | instskip(NEXT) | instid1(VALU_DEP_2)
	v_add_f64_e32 v[34:35], v[36:37], v[34:35]
	v_fma_f64 v[120:121], v[118:119], s[24:25], v[112:113]
	v_fma_f64 v[36:37], v[118:119], s[24:25], -v[112:113]
	v_mul_f64_e32 v[112:113], s[36:37], v[108:109]
	s_delay_alu instid0(VALU_DEP_3) | instskip(SKIP_1) | instid1(VALU_DEP_4)
	v_add_f64_e32 v[28:29], v[120:121], v[28:29]
	v_mul_f64_e32 v[120:121], s[54:55], v[128:129]
	v_add_f64_e32 v[32:33], v[36:37], v[32:33]
	s_delay_alu instid0(VALU_DEP_2) | instskip(SKIP_2) | instid1(VALU_DEP_3)
	v_fma_f64 v[148:149], v[124:125], s[24:25], -v[120:121]
	v_fma_f64 v[36:37], v[124:125], s[24:25], v[120:121]
	v_mul_f64_e32 v[120:121], s[46:47], v[130:131]
	v_add_f64_e32 v[30:31], v[148:149], v[30:31]
	v_mul_f64_e32 v[148:149], s[42:43], v[144:145]
	s_delay_alu instid0(VALU_DEP_4) | instskip(NEXT) | instid1(VALU_DEP_2)
	v_add_f64_e32 v[34:35], v[36:37], v[34:35]
	v_fma_f64 v[150:151], v[126:127], s[22:23], v[148:149]
	v_fma_f64 v[36:37], v[126:127], s[22:23], -v[148:149]
	v_mul_f64_e32 v[148:149], s[46:47], v[114:115]
	s_delay_alu instid0(VALU_DEP_3) | instskip(SKIP_1) | instid1(VALU_DEP_4)
	v_add_f64_e32 v[28:29], v[150:151], v[28:29]
	v_mul_f64_e32 v[150:151], s[42:43], v[132:133]
	v_add_f64_e32 v[32:33], v[36:37], v[32:33]
	s_delay_alu instid0(VALU_DEP_2) | instskip(SKIP_2) | instid1(VALU_DEP_3)
	v_fma_f64 v[36:37], v[134:135], s[22:23], v[150:151]
	v_fma_f64 v[152:153], v[134:135], s[22:23], -v[150:151]
	v_mul_f64_e32 v[150:151], s[12:13], v[138:139]
	v_add_f64_e32 v[36:37], v[36:37], v[34:35]
	v_fma_f64 v[34:35], v[136:137], s[2:3], -v[154:155]
	s_delay_alu instid0(VALU_DEP_4) | instskip(SKIP_2) | instid1(VALU_DEP_4)
	v_add_f64_e32 v[152:153], v[152:153], v[30:31]
	v_fma_f64 v[30:31], v[136:137], s[2:3], v[154:155]
	v_mul_f64_e32 v[154:155], s[52:53], v[144:145]
	v_add_f64_e32 v[34:35], v[34:35], v[32:33]
	v_add_f64_e32 v[32:33], v[38:39], v[36:37]
	v_fma_f64 v[36:37], v[88:89], s[16:17], v[50:51]
	v_fma_f64 v[38:39], v[94:95], s[16:17], -v[52:53]
	v_add_f64_e32 v[30:31], v[30:31], v[28:29]
	v_fma_f64 v[28:29], v[140:141], s[2:3], -v[156:157]
	v_mul_f64_e32 v[156:157], s[52:53], v[132:133]
	v_add_f64_e32 v[36:37], v[36:37], v[44:45]
	v_add_f64_e32 v[38:39], v[38:39], v[64:65]
	v_mul_f64_e32 v[64:65], s[30:31], v[96:97]
	v_add_f64_e32 v[28:29], v[28:29], v[152:153]
	v_mul_f64_e32 v[152:153], s[12:13], v[128:129]
	v_fma_f64 v[44:45], v[92:93], s[2:3], -v[58:59]
	v_fma_f64 v[58:59], v[92:93], s[2:3], v[58:59]
	v_add_f64_e32 v[36:37], v[40:41], v[36:37]
	v_fma_f64 v[40:41], v[100:101], s[18:19], -v[64:65]
	s_delay_alu instid0(VALU_DEP_1) | instskip(SKIP_1) | instid1(VALU_DEP_1)
	v_add_f64_e32 v[38:39], v[40:41], v[38:39]
	v_fma_f64 v[40:41], v[102:103], s[22:23], v[82:83]
	v_add_f64_e32 v[36:37], v[40:41], v[36:37]
	v_fma_f64 v[40:41], v[104:105], s[22:23], -v[112:113]
	s_delay_alu instid0(VALU_DEP_1) | instskip(SKIP_1) | instid1(VALU_DEP_1)
	v_add_f64_e32 v[38:39], v[40:41], v[38:39]
	v_fma_f64 v[40:41], v[106:107], s[20:21], v[120:121]
	v_add_f64_e32 v[36:37], v[40:41], v[36:37]
	v_fma_f64 v[40:41], v[116:117], s[20:21], -v[148:149]
	s_delay_alu instid0(VALU_DEP_1) | instskip(SKIP_1) | instid1(VALU_DEP_1)
	v_add_f64_e32 v[38:39], v[40:41], v[38:39]
	v_fma_f64 v[40:41], v[118:119], s[10:11], v[150:151]
	v_add_f64_e32 v[36:37], v[40:41], v[36:37]
	v_fma_f64 v[40:41], v[124:125], s[10:11], -v[152:153]
	s_delay_alu instid0(VALU_DEP_1) | instskip(SKIP_1) | instid1(VALU_DEP_1)
	v_add_f64_e32 v[38:39], v[40:41], v[38:39]
	v_fma_f64 v[40:41], v[126:127], s[2:3], v[154:155]
	v_add_f64_e32 v[36:37], v[40:41], v[36:37]
	v_fma_f64 v[40:41], v[134:135], s[2:3], -v[156:157]
	s_delay_alu instid0(VALU_DEP_1) | instskip(SKIP_1) | instid1(VALU_DEP_1)
	v_add_f64_e32 v[40:41], v[40:41], v[38:39]
	v_fma_f64 v[38:39], v[136:137], s[28:29], v[158:159]
	v_add_f64_e32 v[38:39], v[38:39], v[36:37]
	v_fma_f64 v[36:37], v[140:141], s[28:29], -v[160:161]
	s_delay_alu instid0(VALU_DEP_1) | instskip(SKIP_1) | instid1(VALU_DEP_1)
	v_add_f64_e32 v[36:37], v[36:37], v[40:41]
	v_fma_f64 v[40:41], v[88:89], s[24:25], -v[162:163]
	v_add_f64_e32 v[40:41], v[40:41], v[48:49]
	s_delay_alu instid0(VALU_DEP_1) | instskip(SKIP_1) | instid1(VALU_DEP_1)
	v_add_f64_e32 v[40:41], v[44:45], v[40:41]
	v_fma_f64 v[44:45], v[100:101], s[2:3], v[166:167]
	v_add_f64_e32 v[42:43], v[44:45], v[42:43]
	v_fma_f64 v[44:45], v[102:103], s[16:17], -v[168:169]
	s_delay_alu instid0(VALU_DEP_1) | instskip(SKIP_1) | instid1(VALU_DEP_1)
	v_add_f64_e32 v[40:41], v[44:45], v[40:41]
	v_fma_f64 v[44:45], v[104:105], s[16:17], v[170:171]
	v_add_f64_e32 v[42:43], v[44:45], v[42:43]
	v_fma_f64 v[44:45], v[106:107], s[10:11], -v[172:173]
	;; [unrolled: 5-line block ×6, first 2 shown]
	s_delay_alu instid0(VALU_DEP_1) | instskip(SKIP_1) | instid1(VALU_DEP_1)
	v_add_f64_e32 v[44:45], v[44:45], v[46:47]
	v_fma_f64 v[46:47], v[94:95], s[2:3], v[190:191]
	v_add_f64_e32 v[46:47], v[46:47], v[56:57]
	v_mul_f64_e32 v[56:57], s[34:35], v[110:111]
	s_delay_alu instid0(VALU_DEP_1) | instskip(SKIP_1) | instid1(VALU_DEP_2)
	v_fma_f64 v[48:49], v[92:93], s[16:17], -v[56:57]
	v_fma_f64 v[56:57], v[92:93], s[16:17], v[56:57]
	v_add_f64_e32 v[44:45], v[48:49], v[44:45]
	v_fma_f64 v[48:49], v[100:101], s[16:17], v[192:193]
	s_delay_alu instid0(VALU_DEP_1) | instskip(SKIP_1) | instid1(VALU_DEP_1)
	v_add_f64_e32 v[46:47], v[48:49], v[46:47]
	v_fma_f64 v[48:49], v[102:103], s[18:19], -v[194:195]
	v_add_f64_e32 v[44:45], v[48:49], v[44:45]
	v_fma_f64 v[48:49], v[104:105], s[18:19], v[196:197]
	s_delay_alu instid0(VALU_DEP_1) | instskip(SKIP_1) | instid1(VALU_DEP_1)
	v_add_f64_e32 v[46:47], v[48:49], v[46:47]
	v_fma_f64 v[48:49], v[106:107], s[28:29], -v[198:199]
	;; [unrolled: 5-line block ×5, first 2 shown]
	v_add_f64_e32 v[46:47], v[46:47], v[44:45]
	v_fma_f64 v[44:45], v[140:141], s[10:11], v[212:213]
	s_delay_alu instid0(VALU_DEP_1) | instskip(SKIP_4) | instid1(VALU_DEP_4)
	v_add_f64_e32 v[44:45], v[44:45], v[48:49]
	v_fma_f64 v[48:49], v[88:89], s[16:17], -v[50:51]
	v_fma_f64 v[50:51], v[94:95], s[16:17], v[52:53]
	v_fma_f64 v[52:53], v[92:93], s[18:19], -v[62:63]
	v_fma_f64 v[62:63], v[140:141], s[10:11], -v[212:213]
	v_add_f64_e32 v[48:49], v[48:49], v[72:73]
	s_delay_alu instid0(VALU_DEP_4) | instskip(SKIP_1) | instid1(VALU_DEP_3)
	v_add_f64_e32 v[50:51], v[50:51], v[54:55]
	v_fma_f64 v[54:55], v[140:141], s[28:29], v[160:161]
	v_add_f64_e32 v[48:49], v[52:53], v[48:49]
	v_fma_f64 v[52:53], v[100:101], s[18:19], v[64:65]
	v_fma_f64 v[64:65], v[140:141], s[22:23], -v[186:187]
	s_delay_alu instid0(VALU_DEP_2) | instskip(SKIP_1) | instid1(VALU_DEP_1)
	v_add_f64_e32 v[50:51], v[52:53], v[50:51]
	v_fma_f64 v[52:53], v[102:103], s[22:23], -v[82:83]
	v_add_f64_e32 v[48:49], v[52:53], v[48:49]
	v_fma_f64 v[52:53], v[104:105], s[22:23], v[112:113]
	v_mul_f64_e32 v[112:113], s[14:15], v[142:143]
	s_delay_alu instid0(VALU_DEP_2) | instskip(SKIP_1) | instid1(VALU_DEP_1)
	v_add_f64_e32 v[50:51], v[52:53], v[50:51]
	v_fma_f64 v[52:53], v[106:107], s[20:21], -v[120:121]
	v_add_f64_e32 v[48:49], v[52:53], v[48:49]
	v_fma_f64 v[52:53], v[116:117], s[20:21], v[148:149]
	s_delay_alu instid0(VALU_DEP_1) | instskip(SKIP_1) | instid1(VALU_DEP_1)
	v_add_f64_e32 v[50:51], v[52:53], v[50:51]
	v_fma_f64 v[52:53], v[118:119], s[10:11], -v[150:151]
	v_add_f64_e32 v[48:49], v[52:53], v[48:49]
	v_fma_f64 v[52:53], v[124:125], s[10:11], v[152:153]
	s_delay_alu instid0(VALU_DEP_1) | instskip(SKIP_1) | instid1(VALU_DEP_1)
	;; [unrolled: 5-line block ×3, first 2 shown]
	v_add_f64_e32 v[52:53], v[52:53], v[50:51]
	v_fma_f64 v[50:51], v[136:137], s[28:29], -v[158:159]
	v_add_f64_e32 v[50:51], v[50:51], v[48:49]
	s_delay_alu instid0(VALU_DEP_3) | instskip(SKIP_2) | instid1(VALU_DEP_2)
	v_add_f64_e32 v[48:49], v[54:55], v[52:53]
	v_fma_f64 v[52:53], v[88:89], s[2:3], v[188:189]
	v_fma_f64 v[54:55], v[94:95], s[2:3], -v[190:191]
	v_add_f64_e32 v[52:53], v[52:53], v[74:75]
	s_delay_alu instid0(VALU_DEP_2) | instskip(SKIP_1) | instid1(VALU_DEP_3)
	v_add_f64_e32 v[54:55], v[54:55], v[66:67]
	v_mul_f64_e32 v[66:67], s[40:41], v[90:91]
	v_add_f64_e32 v[52:53], v[56:57], v[52:53]
	v_fma_f64 v[56:57], v[100:101], s[16:17], -v[192:193]
	s_delay_alu instid0(VALU_DEP_1) | instskip(SKIP_1) | instid1(VALU_DEP_1)
	v_add_f64_e32 v[54:55], v[56:57], v[54:55]
	v_fma_f64 v[56:57], v[102:103], s[18:19], v[194:195]
	v_add_f64_e32 v[52:53], v[56:57], v[52:53]
	v_fma_f64 v[56:57], v[104:105], s[18:19], -v[196:197]
	s_delay_alu instid0(VALU_DEP_1) | instskip(SKIP_1) | instid1(VALU_DEP_1)
	v_add_f64_e32 v[54:55], v[56:57], v[54:55]
	v_fma_f64 v[56:57], v[106:107], s[28:29], v[198:199]
	v_add_f64_e32 v[52:53], v[56:57], v[52:53]
	v_fma_f64 v[56:57], v[116:117], s[28:29], -v[200:201]
	s_delay_alu instid0(VALU_DEP_1) | instskip(SKIP_1) | instid1(VALU_DEP_1)
	v_add_f64_e32 v[54:55], v[56:57], v[54:55]
	v_fma_f64 v[56:57], v[118:119], s[22:23], v[202:203]
	v_add_f64_e32 v[52:53], v[56:57], v[52:53]
	v_fma_f64 v[56:57], v[124:125], s[22:23], -v[204:205]
	s_delay_alu instid0(VALU_DEP_1) | instskip(SKIP_1) | instid1(VALU_DEP_1)
	v_add_f64_e32 v[54:55], v[56:57], v[54:55]
	v_fma_f64 v[56:57], v[126:127], s[24:25], v[206:207]
	v_add_f64_e32 v[52:53], v[56:57], v[52:53]
	v_fma_f64 v[56:57], v[134:135], s[24:25], -v[208:209]
	s_delay_alu instid0(VALU_DEP_1) | instskip(SKIP_1) | instid1(VALU_DEP_1)
	v_add_f64_e32 v[56:57], v[56:57], v[54:55]
	v_fma_f64 v[54:55], v[136:137], s[10:11], v[210:211]
	v_add_f64_e32 v[54:55], v[54:55], v[52:53]
	s_delay_alu instid0(VALU_DEP_3) | instskip(SKIP_2) | instid1(VALU_DEP_2)
	v_add_f64_e32 v[52:53], v[62:63], v[56:57]
	v_fma_f64 v[56:57], v[88:89], s[24:25], v[162:163]
	v_fma_f64 v[62:63], v[94:95], s[24:25], -v[164:165]
	v_add_f64_e32 v[56:57], v[56:57], v[76:77]
	s_delay_alu instid0(VALU_DEP_2) | instskip(SKIP_2) | instid1(VALU_DEP_4)
	v_add_f64_e32 v[62:63], v[62:63], v[68:69]
	v_fma_f64 v[68:69], v[94:95], s[28:29], v[66:67]
	v_fma_f64 v[66:67], v[94:95], s[28:29], -v[66:67]
	v_add_f64_e32 v[56:57], v[58:59], v[56:57]
	v_fma_f64 v[58:59], v[100:101], s[2:3], -v[166:167]
	s_delay_alu instid0(VALU_DEP_4) | instskip(SKIP_2) | instid1(VALU_DEP_4)
	v_add_f64_e32 v[60:61], v[68:69], v[60:61]
	v_mul_f64_e32 v[68:69], s[46:47], v[110:111]
	v_add_f64_e32 v[66:67], v[66:67], v[70:71]
	v_add_f64_e32 v[58:59], v[58:59], v[62:63]
	v_fma_f64 v[62:63], v[102:103], s[16:17], v[168:169]
	s_delay_alu instid0(VALU_DEP_4) | instskip(SKIP_1) | instid1(VALU_DEP_3)
	v_fma_f64 v[72:73], v[92:93], s[20:21], -v[68:69]
	v_fma_f64 v[68:69], v[92:93], s[20:21], v[68:69]
	v_add_f64_e32 v[56:57], v[62:63], v[56:57]
	v_fma_f64 v[62:63], v[104:105], s[16:17], -v[170:171]
	s_delay_alu instid0(VALU_DEP_1) | instskip(SKIP_1) | instid1(VALU_DEP_1)
	v_add_f64_e32 v[58:59], v[62:63], v[58:59]
	v_fma_f64 v[62:63], v[106:107], s[10:11], v[172:173]
	v_add_f64_e32 v[56:57], v[62:63], v[56:57]
	v_fma_f64 v[62:63], v[116:117], s[10:11], -v[174:175]
	s_delay_alu instid0(VALU_DEP_1) | instskip(SKIP_1) | instid1(VALU_DEP_1)
	v_add_f64_e32 v[58:59], v[62:63], v[58:59]
	;; [unrolled: 5-line block ×4, first 2 shown]
	v_fma_f64 v[58:59], v[136:137], s[22:23], v[184:185]
	v_add_f64_e32 v[58:59], v[58:59], v[56:57]
	s_delay_alu instid0(VALU_DEP_3) | instskip(SKIP_1) | instid1(VALU_DEP_1)
	v_add_f64_e32 v[56:57], v[64:65], v[62:63]
	v_mul_f64_e32 v[64:65], s[40:41], v[98:99]
	v_fma_f64 v[62:63], v[88:89], s[28:29], -v[64:65]
	v_fma_f64 v[64:65], v[88:89], s[28:29], v[64:65]
	s_delay_alu instid0(VALU_DEP_2) | instskip(NEXT) | instid1(VALU_DEP_2)
	v_add_f64_e32 v[62:63], v[62:63], v[80:81]
	v_add_f64_e32 v[64:65], v[64:65], v[78:79]
	s_delay_alu instid0(VALU_DEP_2) | instskip(SKIP_1) | instid1(VALU_DEP_3)
	v_add_f64_e32 v[62:63], v[72:73], v[62:63]
	v_mul_f64_e32 v[72:73], s[46:47], v[96:97]
	v_add_f64_e32 v[64:65], v[68:69], v[64:65]
	s_delay_alu instid0(VALU_DEP_2) | instskip(SKIP_1) | instid1(VALU_DEP_2)
	v_fma_f64 v[74:75], v[100:101], s[20:21], v[72:73]
	v_fma_f64 v[72:73], v[100:101], s[20:21], -v[72:73]
	v_add_f64_e32 v[60:61], v[74:75], v[60:61]
	v_mul_f64_e32 v[74:75], s[26:27], v[122:123]
	s_delay_alu instid0(VALU_DEP_3) | instskip(NEXT) | instid1(VALU_DEP_2)
	v_add_f64_e32 v[66:67], v[72:73], v[66:67]
	v_fma_f64 v[76:77], v[102:103], s[24:25], -v[74:75]
	v_fma_f64 v[70:71], v[102:103], s[24:25], v[74:75]
	s_delay_alu instid0(VALU_DEP_2) | instskip(SKIP_1) | instid1(VALU_DEP_3)
	v_add_f64_e32 v[62:63], v[76:77], v[62:63]
	v_mul_f64_e32 v[76:77], s[26:27], v[108:109]
	v_add_f64_e32 v[64:65], v[70:71], v[64:65]
	s_delay_alu instid0(VALU_DEP_2) | instskip(SKIP_1) | instid1(VALU_DEP_2)
	v_fma_f64 v[80:81], v[104:105], s[24:25], v[76:77]
	v_fma_f64 v[74:75], v[104:105], s[24:25], -v[76:77]
	v_add_f64_e32 v[60:61], v[80:81], v[60:61]
	v_mul_f64_e32 v[80:81], s[44:45], v[130:131]
	s_delay_alu instid0(VALU_DEP_3) | instskip(NEXT) | instid1(VALU_DEP_2)
	v_add_f64_e32 v[66:67], v[74:75], v[66:67]
	v_fma_f64 v[82:83], v[106:107], s[18:19], -v[80:81]
	v_fma_f64 v[68:69], v[106:107], s[18:19], v[80:81]
	;; [unrolled: 13-line block ×3, first 2 shown]
	s_delay_alu instid0(VALU_DEP_2) | instskip(SKIP_1) | instid1(VALU_DEP_3)
	v_add_f64_e32 v[62:63], v[96:97], v[62:63]
	v_mul_f64_e32 v[96:97], s[6:7], v[128:129]
	v_add_f64_e32 v[64:65], v[70:71], v[64:65]
	s_delay_alu instid0(VALU_DEP_2) | instskip(SKIP_1) | instid1(VALU_DEP_2)
	v_fma_f64 v[98:99], v[124:125], s[2:3], v[96:97]
	v_fma_f64 v[74:75], v[124:125], s[2:3], -v[96:97]
	v_add_f64_e32 v[60:61], v[98:99], v[60:61]
	v_mul_f64_e32 v[98:99], s[12:13], v[144:145]
	s_delay_alu instid0(VALU_DEP_3) | instskip(SKIP_1) | instid1(VALU_DEP_3)
	v_add_f64_e32 v[66:67], v[74:75], v[66:67]
	v_fma_f64 v[74:75], v[140:141], s[16:17], -v[112:113]
	v_fma_f64 v[108:109], v[126:127], s[10:11], -v[98:99]
	v_fma_f64 v[68:69], v[126:127], s[10:11], v[98:99]
	s_delay_alu instid0(VALU_DEP_2) | instskip(SKIP_1) | instid1(VALU_DEP_3)
	v_add_f64_e32 v[62:63], v[108:109], v[62:63]
	v_mul_f64_e32 v[108:109], s[12:13], v[132:133]
	v_add_f64_e32 v[64:65], v[68:69], v[64:65]
	s_delay_alu instid0(VALU_DEP_2) | instskip(SKIP_1) | instid1(VALU_DEP_2)
	v_fma_f64 v[110:111], v[134:135], s[10:11], v[108:109]
	v_fma_f64 v[72:73], v[134:135], s[10:11], -v[108:109]
	v_add_f64_e32 v[60:61], v[110:111], v[60:61]
	v_mul_f64_e32 v[110:111], s[14:15], v[146:147]
	s_delay_alu instid0(VALU_DEP_3) | instskip(NEXT) | instid1(VALU_DEP_2)
	v_add_f64_e32 v[68:69], v[72:73], v[66:67]
	v_fma_f64 v[114:115], v[136:137], s[16:17], -v[110:111]
	v_fma_f64 v[70:71], v[136:137], s[16:17], v[110:111]
	s_delay_alu instid0(VALU_DEP_2) | instskip(SKIP_1) | instid1(VALU_DEP_3)
	v_add_f64_e32 v[62:63], v[114:115], v[62:63]
	v_fma_f64 v[114:115], v[140:141], s[16:17], v[112:113]
	v_add_f64_e32 v[66:67], v[70:71], v[64:65]
	v_add_f64_e32 v[64:65], v[74:75], v[68:69]
	v_mul_u32_u24_e32 v68, 0x110, v84
	s_delay_alu instid0(VALU_DEP_1)
	v_add3_u32 v68, 0, v68, v218
	v_add_f64_e32 v[60:61], v[114:115], v[60:61]
	ds_store_b128 v68, v[40:43] offset:32
	ds_store_b128 v68, v[44:47] offset:48
	;; [unrolled: 1-line block ×15, first 2 shown]
	ds_store_b128 v68, v[16:19]
	ds_store_b128 v68, v[64:67] offset:256
.LBB0_18:
	s_wait_alu 0xfffe
	s_or_b32 exec_lo, exec_lo, s1
	global_wb scope:SCOPE_SE
	s_wait_dscnt 0x0
	s_barrier_signal -1
	s_barrier_wait -1
	global_inv scope:SCOPE_SE
	ds_load_b128 v[16:19], v217
	ds_load_b128 v[20:23], v85 offset:1088
	ds_load_b128 v[36:39], v85 offset:2720
	;; [unrolled: 1-line block ×7, first 2 shown]
	v_cmp_gt_u32_e64 s0, 34, v84
	s_delay_alu instid0(VALU_DEP_1)
	s_and_saveexec_b32 s1, s0
	s_cbranch_execz .LBB0_20
; %bb.19:
	ds_load_b128 v[0:3], v85 offset:2176
	ds_load_b128 v[4:7], v85 offset:4896
	;; [unrolled: 1-line block ×4, first 2 shown]
.LBB0_20:
	s_wait_alu 0xfffe
	s_or_b32 exec_lo, exec_lo, s1
	v_and_b32_e32 v48, 0xff, v84
	v_add_nc_u16 v49, v84, 0x44
	s_delay_alu instid0(VALU_DEP_2) | instskip(NEXT) | instid1(VALU_DEP_2)
	v_mul_lo_u16 v48, 0xf1, v48
	v_and_b32_e32 v50, 0xff, v49
	s_delay_alu instid0(VALU_DEP_2) | instskip(NEXT) | instid1(VALU_DEP_2)
	v_lshrrev_b16 v88, 12, v48
	v_mul_lo_u16 v48, 0xf1, v50
	s_delay_alu instid0(VALU_DEP_2) | instskip(NEXT) | instid1(VALU_DEP_2)
	v_mul_lo_u16 v50, v88, 17
	v_lshrrev_b16 v89, 12, v48
	s_delay_alu instid0(VALU_DEP_2) | instskip(NEXT) | instid1(VALU_DEP_2)
	v_sub_nc_u16 v48, v84, v50
	v_mul_lo_u16 v50, v89, 17
	s_delay_alu instid0(VALU_DEP_2) | instskip(NEXT) | instid1(VALU_DEP_2)
	v_and_b32_e32 v90, 0xff, v48
	v_sub_nc_u16 v48, v49, v50
	s_delay_alu instid0(VALU_DEP_2) | instskip(NEXT) | instid1(VALU_DEP_2)
	v_mul_u32_u24_e32 v49, 3, v90
	v_and_b32_e32 v91, 0xff, v48
	s_delay_alu instid0(VALU_DEP_2) | instskip(NEXT) | instid1(VALU_DEP_2)
	v_lshlrev_b32_e32 v56, 4, v49
	v_mul_u32_u24_e32 v52, 3, v91
	global_load_b128 v[48:51], v56, s[4:5]
	v_lshlrev_b32_e32 v68, 4, v52
	s_clause 0x4
	global_load_b128 v[52:55], v56, s[4:5] offset:16
	global_load_b128 v[56:59], v56, s[4:5] offset:32
	global_load_b128 v[60:63], v68, s[4:5]
	global_load_b128 v[64:67], v68, s[4:5] offset:16
	global_load_b128 v[68:71], v68, s[4:5] offset:32
	global_wb scope:SCOPE_SE
	s_wait_loadcnt_dscnt 0x0
	s_barrier_signal -1
	s_barrier_wait -1
	global_inv scope:SCOPE_SE
	v_mul_f64_e32 v[74:75], v[42:43], v[54:55]
	v_mul_f64_e32 v[72:73], v[38:39], v[50:51]
	;; [unrolled: 1-line block ×12, first 2 shown]
	v_fma_f64 v[40:41], v[40:41], v[52:53], v[74:75]
	v_fma_f64 v[36:37], v[36:37], v[48:49], v[72:73]
	v_fma_f64 v[38:39], v[38:39], v[48:49], -v[50:51]
	v_fma_f64 v[42:43], v[42:43], v[52:53], -v[54:55]
	v_fma_f64 v[44:45], v[44:45], v[56:57], v[76:77]
	v_fma_f64 v[46:47], v[46:47], v[56:57], -v[58:59]
	v_fma_f64 v[24:25], v[24:25], v[60:61], v[78:79]
	;; [unrolled: 2-line block ×4, first 2 shown]
	v_fma_f64 v[34:35], v[34:35], v[68:69], -v[70:71]
	v_add_f64_e64 v[40:41], v[16:17], -v[40:41]
	v_add_f64_e64 v[42:43], v[18:19], -v[42:43]
	;; [unrolled: 1-line block ×8, first 2 shown]
	v_fma_f64 v[52:53], v[16:17], 2.0, -v[40:41]
	v_fma_f64 v[54:55], v[18:19], 2.0, -v[42:43]
	;; [unrolled: 1-line block ×4, first 2 shown]
	v_add_f64_e32 v[16:17], v[40:41], v[46:47]
	v_add_f64_e64 v[18:19], v[42:43], -v[44:45]
	v_fma_f64 v[38:39], v[20:21], 2.0, -v[48:49]
	v_fma_f64 v[56:57], v[22:23], 2.0, -v[50:51]
	;; [unrolled: 1-line block ×4, first 2 shown]
	v_add_f64_e32 v[20:21], v[48:49], v[28:29]
	v_add_f64_e64 v[24:25], v[52:53], -v[30:31]
	v_add_f64_e64 v[26:27], v[54:55], -v[34:35]
	v_fma_f64 v[34:35], v[42:43], 2.0, -v[18:19]
	v_add_f64_e64 v[28:29], v[38:39], -v[22:23]
	v_add_f64_e64 v[30:31], v[56:57], -v[36:37]
	;; [unrolled: 1-line block ×3, first 2 shown]
	v_fma_f64 v[32:33], v[40:41], 2.0, -v[16:17]
	v_fma_f64 v[36:37], v[48:49], 2.0, -v[20:21]
	v_and_b32_e32 v48, 0xffff, v88
	v_and_b32_e32 v49, 0xffff, v89
	s_delay_alu instid0(VALU_DEP_2) | instskip(NEXT) | instid1(VALU_DEP_2)
	v_mad_u32_u24 v48, 0x440, v48, 0
	v_mad_u32_u24 v49, 0x440, v49, 0
	v_fma_f64 v[40:41], v[52:53], 2.0, -v[24:25]
	v_fma_f64 v[42:43], v[54:55], 2.0, -v[26:27]
	v_fma_f64 v[44:45], v[38:39], 2.0, -v[28:29]
	v_fma_f64 v[46:47], v[56:57], 2.0, -v[30:31]
	v_fma_f64 v[38:39], v[50:51], 2.0, -v[22:23]
	v_lshlrev_b32_e32 v50, 4, v90
	v_lshlrev_b32_e32 v51, 4, v91
	s_delay_alu instid0(VALU_DEP_2) | instskip(NEXT) | instid1(VALU_DEP_2)
	v_add3_u32 v48, v48, v50, v218
	v_add3_u32 v49, v49, v51, v218
	ds_store_b128 v48, v[24:27] offset:544
	ds_store_b128 v48, v[16:19] offset:816
	ds_store_b128 v48, v[40:43]
	ds_store_b128 v48, v[32:35] offset:272
	ds_store_b128 v49, v[44:47]
	ds_store_b128 v49, v[36:39] offset:272
	ds_store_b128 v49, v[28:31] offset:544
	;; [unrolled: 1-line block ×3, first 2 shown]
	s_and_saveexec_b32 s1, s0
	s_cbranch_execz .LBB0_22
; %bb.21:
	v_add_nc_u16 v16, v84, 0x88
	s_delay_alu instid0(VALU_DEP_1) | instskip(NEXT) | instid1(VALU_DEP_1)
	v_and_b32_e32 v17, 0xff, v16
	v_mul_lo_u16 v17, 0xf1, v17
	s_delay_alu instid0(VALU_DEP_1) | instskip(NEXT) | instid1(VALU_DEP_1)
	v_lshrrev_b16 v34, 12, v17
	v_mul_lo_u16 v17, v34, 17
	s_delay_alu instid0(VALU_DEP_1) | instskip(NEXT) | instid1(VALU_DEP_1)
	v_sub_nc_u16 v16, v16, v17
	v_and_b32_e32 v35, 0xff, v16
	s_delay_alu instid0(VALU_DEP_1) | instskip(NEXT) | instid1(VALU_DEP_1)
	v_mul_u32_u24_e32 v16, 3, v35
	v_lshlrev_b32_e32 v24, 4, v16
	s_clause 0x2
	global_load_b128 v[16:19], v24, s[4:5] offset:16
	global_load_b128 v[20:23], v24, s[4:5]
	global_load_b128 v[24:27], v24, s[4:5] offset:32
	s_wait_loadcnt 0x2
	v_mul_f64_e32 v[28:29], v[8:9], v[18:19]
	s_wait_loadcnt 0x1
	v_mul_f64_e32 v[30:31], v[6:7], v[22:23]
	v_mul_f64_e32 v[22:23], v[4:5], v[22:23]
	s_wait_loadcnt 0x0
	v_mul_f64_e32 v[32:33], v[12:13], v[26:27]
	v_mul_f64_e32 v[18:19], v[10:11], v[18:19]
	;; [unrolled: 1-line block ×3, first 2 shown]
	v_fma_f64 v[10:11], v[10:11], v[16:17], -v[28:29]
	v_fma_f64 v[4:5], v[4:5], v[20:21], v[30:31]
	v_fma_f64 v[6:7], v[6:7], v[20:21], -v[22:23]
	v_fma_f64 v[14:15], v[14:15], v[24:25], -v[32:33]
	v_fma_f64 v[8:9], v[8:9], v[16:17], v[18:19]
	v_fma_f64 v[12:13], v[12:13], v[24:25], v[26:27]
	v_add_f64_e64 v[10:11], v[2:3], -v[10:11]
	s_delay_alu instid0(VALU_DEP_4) | instskip(NEXT) | instid1(VALU_DEP_4)
	v_add_f64_e64 v[14:15], v[6:7], -v[14:15]
	v_add_f64_e64 v[8:9], v[0:1], -v[8:9]
	s_delay_alu instid0(VALU_DEP_4) | instskip(NEXT) | instid1(VALU_DEP_4)
	v_add_f64_e64 v[12:13], v[4:5], -v[12:13]
	v_fma_f64 v[16:17], v[2:3], 2.0, -v[10:11]
	s_delay_alu instid0(VALU_DEP_4) | instskip(NEXT) | instid1(VALU_DEP_4)
	v_fma_f64 v[6:7], v[6:7], 2.0, -v[14:15]
	v_fma_f64 v[18:19], v[0:1], 2.0, -v[8:9]
	s_delay_alu instid0(VALU_DEP_4) | instskip(SKIP_1) | instid1(VALU_DEP_4)
	v_fma_f64 v[0:1], v[4:5], 2.0, -v[12:13]
	v_add_f64_e64 v[2:3], v[10:11], -v[12:13]
	v_add_f64_e64 v[6:7], v[16:17], -v[6:7]
	s_delay_alu instid0(VALU_DEP_3) | instskip(SKIP_1) | instid1(VALU_DEP_4)
	v_add_f64_e64 v[4:5], v[18:19], -v[0:1]
	v_add_f64_e32 v[0:1], v[8:9], v[14:15]
	v_fma_f64 v[10:11], v[10:11], 2.0, -v[2:3]
	s_delay_alu instid0(VALU_DEP_4) | instskip(SKIP_4) | instid1(VALU_DEP_4)
	v_fma_f64 v[14:15], v[16:17], 2.0, -v[6:7]
	v_and_b32_e32 v16, 0xffff, v34
	v_fma_f64 v[12:13], v[18:19], 2.0, -v[4:5]
	v_fma_f64 v[8:9], v[8:9], 2.0, -v[0:1]
	v_lshlrev_b32_e32 v17, 4, v35
	v_mad_u32_u24 v16, 0x440, v16, 0
	s_delay_alu instid0(VALU_DEP_1)
	v_add3_u32 v16, v16, v17, v218
	ds_store_b128 v16, v[12:15]
	ds_store_b128 v16, v[8:11] offset:272
	ds_store_b128 v16, v[4:7] offset:544
	;; [unrolled: 1-line block ×3, first 2 shown]
.LBB0_22:
	s_wait_alu 0xfffe
	s_or_b32 exec_lo, exec_lo, s1
	v_mul_u32_u24_e32 v0, 9, v84
	global_wb scope:SCOPE_SE
	s_wait_dscnt 0x0
	s_barrier_signal -1
	s_barrier_wait -1
	global_inv scope:SCOPE_SE
	v_lshlrev_b32_e32 v32, 4, v0
	s_mov_b32 s1, 0x3fee6f0e
	s_mov_b32 s10, 0x4755a5e
	s_mov_b32 s11, 0xbfe2cf23
	s_mov_b32 s3, 0x3fe2cf23
	s_clause 0x8
	global_load_b128 v[0:3], v32, s[4:5] offset:848
	global_load_b128 v[4:7], v32, s[4:5] offset:880
	global_load_b128 v[8:11], v32, s[4:5] offset:912
	global_load_b128 v[12:15], v32, s[4:5] offset:944
	global_load_b128 v[16:19], v32, s[4:5] offset:816
	global_load_b128 v[20:23], v32, s[4:5] offset:832
	global_load_b128 v[24:27], v32, s[4:5] offset:864
	global_load_b128 v[28:31], v32, s[4:5] offset:896
	global_load_b128 v[32:35], v32, s[4:5] offset:928
	ds_load_b128 v[36:39], v85 offset:3264
	ds_load_b128 v[40:43], v85 offset:5440
	;; [unrolled: 1-line block ×6, first 2 shown]
	s_mov_b32 s4, 0x134454ff
	s_mov_b32 s5, 0xbfee6f0e
	s_wait_alu 0xfffe
	s_mov_b32 s0, s4
	s_mov_b32 s2, s10
	;; [unrolled: 1-line block ×7, first 2 shown]
	s_wait_alu 0xfffe
	s_mov_b32 s14, s6
	s_mov_b32 s17, 0xbfe9e377
	;; [unrolled: 1-line block ×3, first 2 shown]
	s_wait_loadcnt_dscnt 0x805
	v_mul_f64_e32 v[60:61], v[36:37], v[2:3]
	s_wait_loadcnt_dscnt 0x704
	v_mul_f64_e32 v[62:63], v[40:41], v[6:7]
	;; [unrolled: 2-line block ×5, first 2 shown]
	v_mul_f64_e32 v[2:3], v[38:39], v[2:3]
	v_mul_f64_e32 v[6:7], v[42:43], v[6:7]
	;; [unrolled: 1-line block ×4, first 2 shown]
	s_wait_loadcnt_dscnt 0x300
	v_mul_f64_e32 v[74:75], v[58:59], v[22:23]
	v_mul_f64_e32 v[22:23], v[56:57], v[22:23]
	;; [unrolled: 1-line block ×3, first 2 shown]
	v_fma_f64 v[38:39], v[38:39], v[0:1], -v[60:61]
	v_fma_f64 v[42:43], v[42:43], v[4:5], -v[62:63]
	;; [unrolled: 1-line block ×4, first 2 shown]
	ds_load_b128 v[60:63], v85 offset:4352
	ds_load_b128 v[64:67], v85 offset:6528
	;; [unrolled: 1-line block ×3, first 2 shown]
	v_fma_f64 v[36:37], v[36:37], v[0:1], v[2:3]
	v_fma_f64 v[4:5], v[40:41], v[4:5], v[6:7]
	;; [unrolled: 1-line block ×4, first 2 shown]
	v_fma_f64 v[10:11], v[54:55], v[16:17], -v[72:73]
	v_fma_f64 v[12:13], v[56:57], v[20:21], v[74:75]
	v_fma_f64 v[14:15], v[58:59], v[20:21], -v[22:23]
	v_fma_f64 v[16:17], v[52:53], v[16:17], v[18:19]
	s_wait_loadcnt_dscnt 0x202
	v_mul_f64_e32 v[76:77], v[62:63], v[26:27]
	v_mul_f64_e32 v[26:27], v[60:61], v[26:27]
	s_wait_loadcnt_dscnt 0x101
	v_mul_f64_e32 v[78:79], v[66:67], v[30:31]
	s_wait_loadcnt_dscnt 0x0
	v_mul_f64_e32 v[80:81], v[70:71], v[34:35]
	v_mul_f64_e32 v[30:31], v[64:65], v[30:31]
	;; [unrolled: 1-line block ×3, first 2 shown]
	v_add_f64_e32 v[0:1], v[42:43], v[46:47]
	v_add_f64_e32 v[2:3], v[38:39], v[50:51]
	v_add_f64_e64 v[88:89], v[36:37], -v[4:5]
	v_add_f64_e32 v[18:19], v[4:5], v[6:7]
	v_add_f64_e64 v[40:41], v[4:5], -v[6:7]
	v_add_f64_e64 v[90:91], v[8:9], -v[6:7]
	;; [unrolled: 1-line block ×3, first 2 shown]
	v_fma_f64 v[20:21], v[60:61], v[24:25], v[76:77]
	v_fma_f64 v[22:23], v[62:63], v[24:25], -v[26:27]
	v_fma_f64 v[24:25], v[64:65], v[28:29], v[78:79]
	v_fma_f64 v[26:27], v[68:69], v[32:33], v[80:81]
	v_fma_f64 v[28:29], v[66:67], v[28:29], -v[30:31]
	v_fma_f64 v[30:31], v[70:71], v[32:33], -v[34:35]
	v_add_f64_e32 v[32:33], v[36:37], v[8:9]
	v_add_f64_e64 v[34:35], v[36:37], -v[8:9]
	v_add_f64_e64 v[60:61], v[38:39], -v[50:51]
	;; [unrolled: 1-line block ×7, first 2 shown]
	v_fma_f64 v[44:45], v[0:1], -0.5, v[10:11]
	v_fma_f64 v[48:49], v[2:3], -0.5, v[10:11]
	ds_load_b128 v[0:3], v217
	v_add_f64_e32 v[10:11], v[10:11], v[38:39]
	global_wb scope:SCOPE_SE
	s_wait_dscnt 0x0
	v_fma_f64 v[18:19], v[18:19], -0.5, v[16:17]
	s_barrier_signal -1
	s_barrier_wait -1
	global_inv scope:SCOPE_SE
	v_add_f64_e64 v[94:95], v[14:15], -v[22:23]
	v_add_f64_e32 v[52:53], v[20:21], v[24:25]
	v_add_f64_e32 v[54:55], v[12:13], v[26:27]
	;; [unrolled: 1-line block ×4, first 2 shown]
	v_fma_f64 v[32:33], v[32:33], -0.5, v[16:17]
	v_add_f64_e32 v[76:77], v[0:1], v[12:13]
	v_add_f64_e32 v[82:83], v[2:3], v[14:15]
	;; [unrolled: 1-line block ×3, first 2 shown]
	v_add_f64_e64 v[78:79], v[14:15], -v[30:31]
	v_add_f64_e64 v[36:37], v[4:5], -v[36:37]
	;; [unrolled: 1-line block ×6, first 2 shown]
	v_fma_f64 v[72:73], v[34:35], s[0:1], v[44:45]
	v_fma_f64 v[74:75], v[40:41], s[4:5], v[48:49]
	;; [unrolled: 1-line block ×4, first 2 shown]
	v_add_f64_e32 v[10:11], v[10:11], v[42:43]
	v_fma_f64 v[38:39], v[52:53], -0.5, v[0:1]
	v_add_f64_e64 v[52:53], v[12:13], -v[26:27]
	v_fma_f64 v[0:1], v[54:55], -0.5, v[0:1]
	v_add_f64_e64 v[54:55], v[20:21], -v[24:25]
	v_fma_f64 v[56:57], v[56:57], -0.5, v[2:3]
	v_fma_f64 v[2:3], v[58:59], -0.5, v[2:3]
	v_add_f64_e32 v[58:59], v[62:63], v[64:65]
	v_add_f64_e32 v[62:63], v[66:67], v[68:69]
	v_fma_f64 v[64:65], v[60:61], s[4:5], v[18:19]
	v_fma_f64 v[18:19], v[60:61], s[0:1], v[18:19]
	;; [unrolled: 1-line block ×4, first 2 shown]
	v_add_f64_e32 v[22:23], v[82:83], v[22:23]
	v_add_f64_e32 v[4:5], v[16:17], v[4:5]
	;; [unrolled: 1-line block ×4, first 2 shown]
	v_fma_f64 v[68:69], v[40:41], s[2:3], v[72:73]
	v_fma_f64 v[72:73], v[34:35], s[2:3], v[74:75]
	;; [unrolled: 1-line block ×4, first 2 shown]
	v_add_f64_e64 v[44:45], v[12:13], -v[20:21]
	v_add_f64_e64 v[12:13], v[20:21], -v[12:13]
	v_add_f64_e32 v[20:21], v[76:77], v[20:21]
	v_add_f64_e64 v[48:49], v[26:27], -v[24:25]
	v_add_f64_e64 v[74:75], v[24:25], -v[26:27]
	v_add_f64_e32 v[14:15], v[14:15], v[98:99]
	v_fma_f64 v[42:43], v[78:79], s[4:5], v[38:39]
	v_fma_f64 v[38:39], v[78:79], s[0:1], v[38:39]
	;; [unrolled: 1-line block ×12, first 2 shown]
	v_add_f64_e32 v[22:23], v[22:23], v[28:29]
	v_add_f64_e32 v[4:5], v[4:5], v[6:7]
	;; [unrolled: 1-line block ×3, first 2 shown]
	v_fma_f64 v[60:61], v[58:59], s[6:7], v[68:69]
	v_fma_f64 v[68:69], v[62:63], s[6:7], v[72:73]
	;; [unrolled: 1-line block ×4, first 2 shown]
	v_add_f64_e32 v[20:21], v[20:21], v[24:25]
	v_add_f64_e32 v[44:45], v[44:45], v[48:49]
	;; [unrolled: 1-line block ×4, first 2 shown]
	v_fma_f64 v[10:11], v[80:81], s[10:11], v[42:43]
	v_fma_f64 v[24:25], v[80:81], s[2:3], v[38:39]
	;; [unrolled: 1-line block ×12, first 2 shown]
	v_add_f64_e32 v[22:23], v[22:23], v[30:31]
	v_add_f64_e32 v[4:5], v[4:5], v[8:9]
	;; [unrolled: 1-line block ×3, first 2 shown]
	v_mul_f64_e32 v[36:37], s[10:11], v[60:61]
	v_mul_f64_e32 v[60:61], s[12:13], v[60:61]
	;; [unrolled: 1-line block ×5, first 2 shown]
	s_wait_alu 0xfffe
	v_mul_f64_e32 v[34:35], s[14:15], v[34:35]
	v_mul_f64_e32 v[58:59], s[10:11], v[40:41]
	;; [unrolled: 1-line block ×3, first 2 shown]
	v_add_f64_e32 v[20:21], v[20:21], v[26:27]
	v_fma_f64 v[26:27], v[44:45], s[6:7], v[10:11]
	v_fma_f64 v[30:31], v[44:45], s[6:7], v[24:25]
	;; [unrolled: 1-line block ×8, first 2 shown]
	v_add_f64_e32 v[2:3], v[22:23], v[6:7]
	v_add_f64_e64 v[6:7], v[22:23], -v[6:7]
	v_fma_f64 v[24:25], v[52:53], s[12:13], v[36:37]
	v_fma_f64 v[52:53], v[52:53], s[2:3], v[60:61]
	;; [unrolled: 1-line block ×8, first 2 shown]
	v_add_f64_e32 v[0:1], v[20:21], v[4:5]
	v_add_f64_e64 v[4:5], v[20:21], -v[4:5]
	v_add_f64_e32 v[8:9], v[26:27], v[24:25]
	v_add_f64_e32 v[10:11], v[38:39], v[52:53]
	;; [unrolled: 1-line block ×8, first 2 shown]
	v_add_f64_e64 v[24:25], v[26:27], -v[24:25]
	v_add_f64_e64 v[26:27], v[38:39], -v[52:53]
	;; [unrolled: 1-line block ×8, first 2 shown]
	ds_store_b128 v85, v[0:3]
	ds_store_b128 v85, v[8:11] offset:1088
	ds_store_b128 v85, v[12:15] offset:2176
	;; [unrolled: 1-line block ×9, first 2 shown]
	global_wb scope:SCOPE_SE
	s_wait_dscnt 0x0
	s_barrier_signal -1
	s_barrier_wait -1
	global_inv scope:SCOPE_SE
	s_and_saveexec_b32 s0, vcc_lo
	s_cbranch_execz .LBB0_24
; %bb.23:
	v_dual_mov_b32 v85, 0 :: v_dual_add_nc_u32 v8, 0x44, v84
	v_add_co_u32 v36, vcc_lo, s8, v86
	v_lshl_add_u32 v34, v84, 4, v216
	s_delay_alu instid0(VALU_DEP_3) | instskip(SKIP_4) | instid1(VALU_DEP_4)
	v_lshlrev_b64_e32 v[0:1], 4, v[84:85]
	s_wait_alu 0xfffd
	v_add_co_ci_u32_e32 v37, vcc_lo, s9, v87, vcc_lo
	v_dual_mov_b32 v9, v85 :: v_dual_add_nc_u32 v10, 0x88, v84
	v_dual_mov_b32 v11, v85 :: v_dual_add_nc_u32 v22, 0xcc, v84
	v_add_co_u32 v16, vcc_lo, v36, v0
	s_wait_alu 0xfffd
	v_add_co_ci_u32_e32 v17, vcc_lo, v37, v1, vcc_lo
	ds_load_b128 v[0:3], v34
	ds_load_b128 v[4:7], v34 offset:1088
	v_lshlrev_b64_e32 v[18:19], 4, v[8:9]
	v_lshlrev_b64_e32 v[20:21], 4, v[10:11]
	ds_load_b128 v[8:11], v34 offset:2176
	ds_load_b128 v[12:15], v34 offset:3264
	v_dual_mov_b32 v23, v85 :: v_dual_add_nc_u32 v24, 0x110, v84
	v_mov_b32_e32 v25, v85
	v_add_co_u32 v18, vcc_lo, v36, v18
	s_delay_alu instid0(VALU_DEP_3)
	v_lshlrev_b64_e32 v[22:23], 4, v[22:23]
	s_wait_alu 0xfffd
	v_add_co_ci_u32_e32 v19, vcc_lo, v37, v19, vcc_lo
	v_add_co_u32 v20, vcc_lo, v36, v20
	s_wait_alu 0xfffd
	v_add_co_ci_u32_e32 v21, vcc_lo, v37, v21, vcc_lo
	v_add_co_u32 v22, vcc_lo, v36, v22
	s_wait_dscnt 0x3
	global_store_b128 v[16:17], v[0:3], off
	s_wait_dscnt 0x2
	global_store_b128 v[18:19], v[4:7], off
	v_dual_mov_b32 v3, v85 :: v_dual_add_nc_u32 v2, 0x154, v84
	s_wait_alu 0xfffd
	v_add_co_ci_u32_e32 v23, vcc_lo, v37, v23, vcc_lo
	v_lshlrev_b64_e32 v[0:1], 4, v[24:25]
	s_wait_dscnt 0x1
	global_store_b128 v[20:21], v[8:11], off
	s_wait_dscnt 0x0
	global_store_b128 v[22:23], v[12:15], off
	v_add_nc_u32_e32 v10, 0x198, v84
	v_lshlrev_b64_e32 v[8:9], 4, v[2:3]
	v_dual_mov_b32 v11, v85 :: v_dual_add_nc_u32 v16, 0x1dc, v84
	v_add_co_u32 v24, vcc_lo, v36, v0
	s_wait_alu 0xfffd
	v_add_co_ci_u32_e32 v25, vcc_lo, v37, v1, vcc_lo
	s_delay_alu instid0(VALU_DEP_4)
	v_add_co_u32 v26, vcc_lo, v36, v8
	s_wait_alu 0xfffd
	v_add_co_ci_u32_e32 v27, vcc_lo, v37, v9, vcc_lo
	v_lshlrev_b64_e32 v[8:9], 4, v[10:11]
	v_dual_mov_b32 v17, v85 :: v_dual_add_nc_u32 v18, 0x220, v84
	v_dual_mov_b32 v19, v85 :: v_dual_add_nc_u32 v84, 0x264, v84
	ds_load_b128 v[0:3], v34 offset:4352
	ds_load_b128 v[4:7], v34 offset:5440
	v_add_co_u32 v28, vcc_lo, v36, v8
	s_wait_alu 0xfffd
	v_add_co_ci_u32_e32 v29, vcc_lo, v37, v9, vcc_lo
	ds_load_b128 v[8:11], v34 offset:6528
	ds_load_b128 v[12:15], v34 offset:7616
	v_lshlrev_b64_e32 v[30:31], 4, v[16:17]
	v_lshlrev_b64_e32 v[32:33], 4, v[18:19]
	ds_load_b128 v[16:19], v34 offset:8704
	ds_load_b128 v[20:23], v34 offset:9792
	v_lshlrev_b64_e32 v[34:35], 4, v[84:85]
	v_add_co_u32 v30, vcc_lo, v36, v30
	s_wait_alu 0xfffd
	v_add_co_ci_u32_e32 v31, vcc_lo, v37, v31, vcc_lo
	v_add_co_u32 v32, vcc_lo, v36, v32
	s_wait_alu 0xfffd
	v_add_co_ci_u32_e32 v33, vcc_lo, v37, v33, vcc_lo
	;; [unrolled: 3-line block ×3, first 2 shown]
	s_wait_dscnt 0x5
	global_store_b128 v[24:25], v[0:3], off
	s_wait_dscnt 0x4
	global_store_b128 v[26:27], v[4:7], off
	;; [unrolled: 2-line block ×6, first 2 shown]
.LBB0_24:
	s_nop 0
	s_sendmsg sendmsg(MSG_DEALLOC_VGPRS)
	s_endpgm
	.section	.rodata,"a",@progbits
	.p2align	6, 0x0
	.amdhsa_kernel fft_rtc_back_len680_factors_17_4_10_wgs_204_tpt_68_halfLds_dp_ip_CI_unitstride_sbrr_C2R_dirReg
		.amdhsa_group_segment_fixed_size 0
		.amdhsa_private_segment_fixed_size 0
		.amdhsa_kernarg_size 88
		.amdhsa_user_sgpr_count 2
		.amdhsa_user_sgpr_dispatch_ptr 0
		.amdhsa_user_sgpr_queue_ptr 0
		.amdhsa_user_sgpr_kernarg_segment_ptr 1
		.amdhsa_user_sgpr_dispatch_id 0
		.amdhsa_user_sgpr_private_segment_size 0
		.amdhsa_wavefront_size32 1
		.amdhsa_uses_dynamic_stack 0
		.amdhsa_enable_private_segment 0
		.amdhsa_system_sgpr_workgroup_id_x 1
		.amdhsa_system_sgpr_workgroup_id_y 0
		.amdhsa_system_sgpr_workgroup_id_z 0
		.amdhsa_system_sgpr_workgroup_info 0
		.amdhsa_system_vgpr_workitem_id 0
		.amdhsa_next_free_vgpr 253
		.amdhsa_next_free_sgpr 56
		.amdhsa_reserve_vcc 1
		.amdhsa_float_round_mode_32 0
		.amdhsa_float_round_mode_16_64 0
		.amdhsa_float_denorm_mode_32 3
		.amdhsa_float_denorm_mode_16_64 3
		.amdhsa_fp16_overflow 0
		.amdhsa_workgroup_processor_mode 1
		.amdhsa_memory_ordered 1
		.amdhsa_forward_progress 0
		.amdhsa_round_robin_scheduling 0
		.amdhsa_exception_fp_ieee_invalid_op 0
		.amdhsa_exception_fp_denorm_src 0
		.amdhsa_exception_fp_ieee_div_zero 0
		.amdhsa_exception_fp_ieee_overflow 0
		.amdhsa_exception_fp_ieee_underflow 0
		.amdhsa_exception_fp_ieee_inexact 0
		.amdhsa_exception_int_div_zero 0
	.end_amdhsa_kernel
	.text
.Lfunc_end0:
	.size	fft_rtc_back_len680_factors_17_4_10_wgs_204_tpt_68_halfLds_dp_ip_CI_unitstride_sbrr_C2R_dirReg, .Lfunc_end0-fft_rtc_back_len680_factors_17_4_10_wgs_204_tpt_68_halfLds_dp_ip_CI_unitstride_sbrr_C2R_dirReg
                                        ; -- End function
	.section	.AMDGPU.csdata,"",@progbits
; Kernel info:
; codeLenInByte = 11612
; NumSgprs: 58
; NumVgprs: 253
; ScratchSize: 0
; MemoryBound: 0
; FloatMode: 240
; IeeeMode: 1
; LDSByteSize: 0 bytes/workgroup (compile time only)
; SGPRBlocks: 7
; VGPRBlocks: 31
; NumSGPRsForWavesPerEU: 58
; NumVGPRsForWavesPerEU: 253
; Occupancy: 5
; WaveLimiterHint : 1
; COMPUTE_PGM_RSRC2:SCRATCH_EN: 0
; COMPUTE_PGM_RSRC2:USER_SGPR: 2
; COMPUTE_PGM_RSRC2:TRAP_HANDLER: 0
; COMPUTE_PGM_RSRC2:TGID_X_EN: 1
; COMPUTE_PGM_RSRC2:TGID_Y_EN: 0
; COMPUTE_PGM_RSRC2:TGID_Z_EN: 0
; COMPUTE_PGM_RSRC2:TIDIG_COMP_CNT: 0
	.text
	.p2alignl 7, 3214868480
	.fill 96, 4, 3214868480
	.type	__hip_cuid_ce17f432d543125,@object ; @__hip_cuid_ce17f432d543125
	.section	.bss,"aw",@nobits
	.globl	__hip_cuid_ce17f432d543125
__hip_cuid_ce17f432d543125:
	.byte	0                               ; 0x0
	.size	__hip_cuid_ce17f432d543125, 1

	.ident	"AMD clang version 19.0.0git (https://github.com/RadeonOpenCompute/llvm-project roc-6.4.0 25133 c7fe45cf4b819c5991fe208aaa96edf142730f1d)"
	.section	".note.GNU-stack","",@progbits
	.addrsig
	.addrsig_sym __hip_cuid_ce17f432d543125
	.amdgpu_metadata
---
amdhsa.kernels:
  - .args:
      - .actual_access:  read_only
        .address_space:  global
        .offset:         0
        .size:           8
        .value_kind:     global_buffer
      - .offset:         8
        .size:           8
        .value_kind:     by_value
      - .actual_access:  read_only
        .address_space:  global
        .offset:         16
        .size:           8
        .value_kind:     global_buffer
      - .actual_access:  read_only
        .address_space:  global
        .offset:         24
        .size:           8
        .value_kind:     global_buffer
      - .offset:         32
        .size:           8
        .value_kind:     by_value
      - .actual_access:  read_only
        .address_space:  global
        .offset:         40
        .size:           8
        .value_kind:     global_buffer
      - .actual_access:  read_only
        .address_space:  global
        .offset:         48
        .size:           8
        .value_kind:     global_buffer
      - .offset:         56
        .size:           4
        .value_kind:     by_value
      - .actual_access:  read_only
        .address_space:  global
        .offset:         64
        .size:           8
        .value_kind:     global_buffer
      - .actual_access:  read_only
        .address_space:  global
        .offset:         72
        .size:           8
        .value_kind:     global_buffer
      - .address_space:  global
        .offset:         80
        .size:           8
        .value_kind:     global_buffer
    .group_segment_fixed_size: 0
    .kernarg_segment_align: 8
    .kernarg_segment_size: 88
    .language:       OpenCL C
    .language_version:
      - 2
      - 0
    .max_flat_workgroup_size: 204
    .name:           fft_rtc_back_len680_factors_17_4_10_wgs_204_tpt_68_halfLds_dp_ip_CI_unitstride_sbrr_C2R_dirReg
    .private_segment_fixed_size: 0
    .sgpr_count:     58
    .sgpr_spill_count: 0
    .symbol:         fft_rtc_back_len680_factors_17_4_10_wgs_204_tpt_68_halfLds_dp_ip_CI_unitstride_sbrr_C2R_dirReg.kd
    .uniform_work_group_size: 1
    .uses_dynamic_stack: false
    .vgpr_count:     253
    .vgpr_spill_count: 0
    .wavefront_size: 32
    .workgroup_processor_mode: 1
amdhsa.target:   amdgcn-amd-amdhsa--gfx1201
amdhsa.version:
  - 1
  - 2
...

	.end_amdgpu_metadata
